;; amdgpu-corpus repo=ROCm/rocFFT kind=compiled arch=gfx906 opt=O3
	.text
	.amdgcn_target "amdgcn-amd-amdhsa--gfx906"
	.amdhsa_code_object_version 6
	.protected	fft_rtc_back_len544_factors_17_2_16_wgs_102_tpt_34_halfLds_dp_ip_CI_unitstride_sbrr_C2R_dirReg ; -- Begin function fft_rtc_back_len544_factors_17_2_16_wgs_102_tpt_34_halfLds_dp_ip_CI_unitstride_sbrr_C2R_dirReg
	.globl	fft_rtc_back_len544_factors_17_2_16_wgs_102_tpt_34_halfLds_dp_ip_CI_unitstride_sbrr_C2R_dirReg
	.p2align	8
	.type	fft_rtc_back_len544_factors_17_2_16_wgs_102_tpt_34_halfLds_dp_ip_CI_unitstride_sbrr_C2R_dirReg,@function
fft_rtc_back_len544_factors_17_2_16_wgs_102_tpt_34_halfLds_dp_ip_CI_unitstride_sbrr_C2R_dirReg: ; @fft_rtc_back_len544_factors_17_2_16_wgs_102_tpt_34_halfLds_dp_ip_CI_unitstride_sbrr_C2R_dirReg
; %bb.0:
	s_load_dwordx2 s[2:3], s[4:5], 0x50
	s_load_dwordx4 s[8:11], s[4:5], 0x0
	s_load_dwordx2 s[12:13], s[4:5], 0x18
	v_mul_u32_u24_e32 v1, 0x788, v0
	v_lshrrev_b32_e32 v1, 16, v1
	v_mad_u64_u32 v[1:2], s[0:1], s6, 3, v[1:2]
	v_mov_b32_e32 v5, 0
	s_waitcnt lgkmcnt(0)
	v_cmp_lt_u64_e64 s[0:1], s[10:11], 2
	v_mov_b32_e32 v2, v5
	v_mov_b32_e32 v3, 0
	;; [unrolled: 1-line block ×3, first 2 shown]
	s_and_b64 vcc, exec, s[0:1]
	v_mov_b32_e32 v4, 0
	v_mov_b32_e32 v9, v1
	s_cbranch_vccnz .LBB0_8
; %bb.1:
	s_load_dwordx2 s[0:1], s[4:5], 0x10
	s_add_u32 s6, s12, 8
	s_addc_u32 s7, s13, 0
	v_mov_b32_e32 v3, 0
	v_mov_b32_e32 v8, v2
	s_waitcnt lgkmcnt(0)
	s_add_u32 s16, s0, 8
	s_mov_b64 s[14:15], 1
	v_mov_b32_e32 v4, 0
	s_addc_u32 s17, s1, 0
	v_mov_b32_e32 v7, v1
.LBB0_2:                                ; =>This Inner Loop Header: Depth=1
	s_load_dwordx2 s[18:19], s[16:17], 0x0
                                        ; implicit-def: $vgpr9_vgpr10
	s_waitcnt lgkmcnt(0)
	v_or_b32_e32 v6, s19, v8
	v_cmp_ne_u64_e32 vcc, 0, v[5:6]
	s_and_saveexec_b64 s[0:1], vcc
	s_xor_b64 s[20:21], exec, s[0:1]
	s_cbranch_execz .LBB0_4
; %bb.3:                                ;   in Loop: Header=BB0_2 Depth=1
	v_cvt_f32_u32_e32 v2, s18
	v_cvt_f32_u32_e32 v6, s19
	s_sub_u32 s0, 0, s18
	s_subb_u32 s1, 0, s19
	v_mac_f32_e32 v2, 0x4f800000, v6
	v_rcp_f32_e32 v2, v2
	v_mul_f32_e32 v2, 0x5f7ffffc, v2
	v_mul_f32_e32 v6, 0x2f800000, v2
	v_trunc_f32_e32 v6, v6
	v_mac_f32_e32 v2, 0xcf800000, v6
	v_cvt_u32_f32_e32 v6, v6
	v_cvt_u32_f32_e32 v2, v2
	v_mul_lo_u32 v9, s0, v6
	v_mul_hi_u32 v10, s0, v2
	v_mul_lo_u32 v12, s1, v2
	v_mul_lo_u32 v11, s0, v2
	v_add_u32_e32 v9, v10, v9
	v_add_u32_e32 v9, v9, v12
	v_mul_hi_u32 v10, v2, v11
	v_mul_lo_u32 v12, v2, v9
	v_mul_hi_u32 v14, v2, v9
	v_mul_hi_u32 v13, v6, v11
	v_mul_lo_u32 v11, v6, v11
	v_mul_hi_u32 v15, v6, v9
	v_add_co_u32_e32 v10, vcc, v10, v12
	v_addc_co_u32_e32 v12, vcc, 0, v14, vcc
	v_mul_lo_u32 v9, v6, v9
	v_add_co_u32_e32 v10, vcc, v10, v11
	v_addc_co_u32_e32 v10, vcc, v12, v13, vcc
	v_addc_co_u32_e32 v11, vcc, 0, v15, vcc
	v_add_co_u32_e32 v9, vcc, v10, v9
	v_addc_co_u32_e32 v10, vcc, 0, v11, vcc
	v_add_co_u32_e32 v2, vcc, v2, v9
	v_addc_co_u32_e32 v6, vcc, v6, v10, vcc
	v_mul_lo_u32 v9, s0, v6
	v_mul_hi_u32 v10, s0, v2
	v_mul_lo_u32 v11, s1, v2
	v_mul_lo_u32 v12, s0, v2
	v_add_u32_e32 v9, v10, v9
	v_add_u32_e32 v9, v9, v11
	v_mul_lo_u32 v13, v2, v9
	v_mul_hi_u32 v14, v2, v12
	v_mul_hi_u32 v15, v2, v9
	;; [unrolled: 1-line block ×3, first 2 shown]
	v_mul_lo_u32 v12, v6, v12
	v_mul_hi_u32 v10, v6, v9
	v_add_co_u32_e32 v13, vcc, v14, v13
	v_addc_co_u32_e32 v14, vcc, 0, v15, vcc
	v_mul_lo_u32 v9, v6, v9
	v_add_co_u32_e32 v12, vcc, v13, v12
	v_addc_co_u32_e32 v11, vcc, v14, v11, vcc
	v_addc_co_u32_e32 v10, vcc, 0, v10, vcc
	v_add_co_u32_e32 v9, vcc, v11, v9
	v_addc_co_u32_e32 v10, vcc, 0, v10, vcc
	v_add_co_u32_e32 v2, vcc, v2, v9
	v_addc_co_u32_e32 v6, vcc, v6, v10, vcc
	v_mad_u64_u32 v[9:10], s[0:1], v7, v6, 0
	v_mul_hi_u32 v11, v7, v2
	v_add_co_u32_e32 v13, vcc, v11, v9
	v_addc_co_u32_e32 v14, vcc, 0, v10, vcc
	v_mad_u64_u32 v[9:10], s[0:1], v8, v2, 0
	v_mad_u64_u32 v[11:12], s[0:1], v8, v6, 0
	v_add_co_u32_e32 v2, vcc, v13, v9
	v_addc_co_u32_e32 v2, vcc, v14, v10, vcc
	v_addc_co_u32_e32 v6, vcc, 0, v12, vcc
	v_add_co_u32_e32 v2, vcc, v2, v11
	v_addc_co_u32_e32 v6, vcc, 0, v6, vcc
	v_mul_lo_u32 v11, s19, v2
	v_mul_lo_u32 v12, s18, v6
	v_mad_u64_u32 v[9:10], s[0:1], s18, v2, 0
	v_add3_u32 v10, v10, v12, v11
	v_sub_u32_e32 v11, v8, v10
	v_mov_b32_e32 v12, s19
	v_sub_co_u32_e32 v9, vcc, v7, v9
	v_subb_co_u32_e64 v11, s[0:1], v11, v12, vcc
	v_subrev_co_u32_e64 v12, s[0:1], s18, v9
	v_subbrev_co_u32_e64 v11, s[0:1], 0, v11, s[0:1]
	v_cmp_le_u32_e64 s[0:1], s19, v11
	v_cndmask_b32_e64 v13, 0, -1, s[0:1]
	v_cmp_le_u32_e64 s[0:1], s18, v12
	v_cndmask_b32_e64 v12, 0, -1, s[0:1]
	v_cmp_eq_u32_e64 s[0:1], s19, v11
	v_cndmask_b32_e64 v11, v13, v12, s[0:1]
	v_add_co_u32_e64 v12, s[0:1], 2, v2
	v_addc_co_u32_e64 v13, s[0:1], 0, v6, s[0:1]
	v_add_co_u32_e64 v14, s[0:1], 1, v2
	v_addc_co_u32_e64 v15, s[0:1], 0, v6, s[0:1]
	v_subb_co_u32_e32 v10, vcc, v8, v10, vcc
	v_cmp_ne_u32_e64 s[0:1], 0, v11
	v_cmp_le_u32_e32 vcc, s19, v10
	v_cndmask_b32_e64 v11, v15, v13, s[0:1]
	v_cndmask_b32_e64 v13, 0, -1, vcc
	v_cmp_le_u32_e32 vcc, s18, v9
	v_cndmask_b32_e64 v9, 0, -1, vcc
	v_cmp_eq_u32_e32 vcc, s19, v10
	v_cndmask_b32_e32 v9, v13, v9, vcc
	v_cmp_ne_u32_e32 vcc, 0, v9
	v_cndmask_b32_e32 v10, v6, v11, vcc
	v_cndmask_b32_e64 v6, v14, v12, s[0:1]
	v_cndmask_b32_e32 v9, v2, v6, vcc
.LBB0_4:                                ;   in Loop: Header=BB0_2 Depth=1
	s_andn2_saveexec_b64 s[0:1], s[20:21]
	s_cbranch_execz .LBB0_6
; %bb.5:                                ;   in Loop: Header=BB0_2 Depth=1
	v_cvt_f32_u32_e32 v2, s18
	s_sub_i32 s20, 0, s18
	v_rcp_iflag_f32_e32 v2, v2
	v_mul_f32_e32 v2, 0x4f7ffffe, v2
	v_cvt_u32_f32_e32 v2, v2
	v_mul_lo_u32 v6, s20, v2
	v_mul_hi_u32 v6, v2, v6
	v_add_u32_e32 v2, v2, v6
	v_mul_hi_u32 v2, v7, v2
	v_mul_lo_u32 v6, v2, s18
	v_add_u32_e32 v9, 1, v2
	v_sub_u32_e32 v6, v7, v6
	v_subrev_u32_e32 v10, s18, v6
	v_cmp_le_u32_e32 vcc, s18, v6
	v_cndmask_b32_e32 v6, v6, v10, vcc
	v_cndmask_b32_e32 v2, v2, v9, vcc
	v_add_u32_e32 v9, 1, v2
	v_cmp_le_u32_e32 vcc, s18, v6
	v_cndmask_b32_e32 v9, v2, v9, vcc
	v_mov_b32_e32 v10, v5
.LBB0_6:                                ;   in Loop: Header=BB0_2 Depth=1
	s_or_b64 exec, exec, s[0:1]
	v_mul_lo_u32 v2, v10, s18
	v_mul_lo_u32 v6, v9, s19
	v_mad_u64_u32 v[11:12], s[0:1], v9, s18, 0
	s_load_dwordx2 s[0:1], s[6:7], 0x0
	s_add_u32 s14, s14, 1
	v_add3_u32 v2, v12, v6, v2
	v_sub_co_u32_e32 v6, vcc, v7, v11
	v_subb_co_u32_e32 v2, vcc, v8, v2, vcc
	s_waitcnt lgkmcnt(0)
	v_mul_lo_u32 v2, s0, v2
	v_mul_lo_u32 v7, s1, v6
	v_mad_u64_u32 v[3:4], s[0:1], s0, v6, v[3:4]
	s_addc_u32 s15, s15, 0
	s_add_u32 s6, s6, 8
	v_add3_u32 v4, v7, v4, v2
	v_mov_b32_e32 v6, s10
	v_mov_b32_e32 v7, s11
	s_addc_u32 s7, s7, 0
	v_cmp_ge_u64_e32 vcc, s[14:15], v[6:7]
	s_add_u32 s16, s16, 8
	s_addc_u32 s17, s17, 0
	s_cbranch_vccnz .LBB0_8
; %bb.7:                                ;   in Loop: Header=BB0_2 Depth=1
	v_mov_b32_e32 v7, v9
	v_mov_b32_e32 v8, v10
	s_branch .LBB0_2
.LBB0_8:
	s_lshl_b64 s[0:1], s[10:11], 3
	s_add_u32 s0, s12, s0
	s_addc_u32 s1, s13, s1
	s_load_dwordx2 s[0:1], s[0:1], 0x0
	s_mov_b32 s6, 0xaaaaaaab
	v_mul_hi_u32 v5, v1, s6
	s_waitcnt lgkmcnt(0)
	v_mul_lo_u32 v6, s0, v10
	v_mul_lo_u32 v7, s1, v9
	v_mad_u64_u32 v[2:3], s[0:1], s0, v9, v[3:4]
	s_load_dwordx2 s[0:1], s[4:5], 0x20
	s_mov_b32 s4, 0x7878788
	v_lshrrev_b32_e32 v4, 1, v5
	v_mul_hi_u32 v5, v0, s4
	v_lshl_add_u32 v4, v4, 1, v4
	v_add3_u32 v3, v7, v3, v6
	v_sub_u32_e32 v1, v1, v4
	v_mul_u32_u24_e32 v1, 0x221, v1
	s_waitcnt lgkmcnt(0)
	v_cmp_gt_u64_e64 s[0:1], s[0:1], v[9:10]
	v_mul_u32_u24_e32 v4, 34, v5
	v_lshlrev_b64 v[70:71], 4, v[2:3]
	v_sub_u32_e32 v68, v0, v4
	v_lshlrev_b32_e32 v114, 4, v1
	s_and_saveexec_b64 s[4:5], s[0:1]
	s_cbranch_execz .LBB0_12
; %bb.9:
	v_mov_b32_e32 v69, 0
	v_mov_b32_e32 v0, s3
	v_add_co_u32_e32 v2, vcc, s2, v70
	v_lshlrev_b64 v[3:4], 4, v[68:69]
	v_addc_co_u32_e32 v0, vcc, v0, v71, vcc
	v_add_co_u32_e32 v36, vcc, v2, v3
	v_addc_co_u32_e32 v37, vcc, v0, v4, vcc
	s_movk_i32 s6, 0x1000
	v_add_co_u32_e32 v72, vcc, s6, v36
	v_addc_co_u32_e32 v73, vcc, 0, v37, vcc
	global_load_dwordx4 v[4:7], v[36:37], off
	global_load_dwordx4 v[8:11], v[36:37], off offset:544
	global_load_dwordx4 v[12:15], v[36:37], off offset:1088
	;; [unrolled: 1-line block ×7, first 2 shown]
	s_nop 0
	global_load_dwordx4 v[36:39], v[72:73], off offset:256
	global_load_dwordx4 v[40:43], v[72:73], off offset:800
	;; [unrolled: 1-line block ×8, first 2 shown]
	v_lshlrev_b32_e32 v3, 4, v68
	v_add3_u32 v3, 0, v114, v3
	v_cmp_eq_u32_e32 vcc, 33, v68
	s_waitcnt vmcnt(15)
	ds_write_b128 v3, v[4:7]
	s_waitcnt vmcnt(14)
	ds_write_b128 v3, v[8:11] offset:544
	s_waitcnt vmcnt(13)
	ds_write_b128 v3, v[12:15] offset:1088
	;; [unrolled: 2-line block ×15, first 2 shown]
	s_and_saveexec_b64 s[6:7], vcc
	s_cbranch_execz .LBB0_11
; %bb.10:
	v_add_co_u32_e32 v4, vcc, 0x2000, v2
	v_addc_co_u32_e32 v5, vcc, 0, v0, vcc
	global_load_dwordx4 v[4:7], v[4:5], off offset:512
	v_mov_b32_e32 v68, 33
	s_waitcnt vmcnt(0)
	ds_write_b128 v3, v[4:7] offset:8176
.LBB0_11:
	s_or_b64 exec, exec, s[6:7]
.LBB0_12:
	s_or_b64 exec, exec, s[4:5]
	v_lshl_add_u32 v112, v1, 4, 0
	v_lshlrev_b32_e32 v6, 4, v68
	v_add_u32_e32 v113, v112, v6
	s_waitcnt lgkmcnt(0)
	s_barrier
	v_sub_u32_e32 v7, v112, v6
	ds_read_b64 v[2:3], v113
	ds_read_b64 v[4:5], v7 offset:8704
	s_add_u32 s6, s8, 0x20f0
	s_addc_u32 s7, s9, 0
	v_cmp_ne_u32_e32 vcc, 0, v68
	s_waitcnt lgkmcnt(0)
	v_add_f64 v[0:1], v[2:3], v[4:5]
	v_add_f64 v[2:3], v[2:3], -v[4:5]
                                        ; implicit-def: $vgpr4_vgpr5
	s_and_saveexec_b64 s[4:5], vcc
	s_xor_b64 s[4:5], exec, s[4:5]
	s_cbranch_execz .LBB0_14
; %bb.13:
	v_mov_b32_e32 v69, 0
	v_lshlrev_b64 v[4:5], 4, v[68:69]
	v_mov_b32_e32 v8, s7
	v_add_co_u32_e32 v4, vcc, s6, v4
	v_addc_co_u32_e32 v5, vcc, v8, v5, vcc
	global_load_dwordx4 v[8:11], v[4:5], off
	ds_read_b64 v[4:5], v7 offset:8712
	ds_read_b64 v[12:13], v113 offset:8
	s_waitcnt lgkmcnt(0)
	v_add_f64 v[14:15], v[4:5], v[12:13]
	v_add_f64 v[4:5], v[12:13], -v[4:5]
	s_waitcnt vmcnt(0)
	v_fma_f64 v[12:13], v[2:3], v[10:11], v[0:1]
	v_fma_f64 v[16:17], v[14:15], v[10:11], v[4:5]
	v_fma_f64 v[0:1], -v[2:3], v[10:11], v[0:1]
	v_fma_f64 v[4:5], v[14:15], v[10:11], -v[4:5]
	v_fma_f64 v[10:11], -v[14:15], v[8:9], v[12:13]
	v_fma_f64 v[12:13], v[2:3], v[8:9], v[16:17]
	v_fma_f64 v[0:1], v[14:15], v[8:9], v[0:1]
	;; [unrolled: 1-line block ×3, first 2 shown]
	v_mov_b32_e32 v4, v68
	v_mov_b32_e32 v5, v69
	ds_write_b128 v113, v[10:13]
	ds_write_b128 v7, v[0:3] offset:8704
                                        ; implicit-def: $vgpr0_vgpr1
.LBB0_14:
	s_andn2_saveexec_b64 s[4:5], s[4:5]
	s_cbranch_execz .LBB0_16
; %bb.15:
	ds_write_b128 v113, v[0:3]
	ds_read_b128 v[0:3], v112 offset:4352
	v_mov_b32_e32 v4, 0
	v_mov_b32_e32 v5, 0
	s_waitcnt lgkmcnt(0)
	v_add_f64 v[0:1], v[0:1], v[0:1]
	v_mul_f64 v[2:3], v[2:3], -2.0
	ds_write_b128 v112, v[0:3] offset:4352
.LBB0_16:
	s_or_b64 exec, exec, s[4:5]
	v_lshlrev_b64 v[0:1], 4, v[4:5]
	v_mov_b32_e32 v2, s7
	v_add_co_u32_e32 v24, vcc, s6, v0
	v_addc_co_u32_e32 v25, vcc, v2, v1, vcc
	global_load_dwordx4 v[0:3], v[24:25], off offset:544
	global_load_dwordx4 v[8:11], v[24:25], off offset:1088
	ds_read_b128 v[12:15], v113 offset:544
	ds_read_b128 v[16:19], v7 offset:8160
	global_load_dwordx4 v[20:23], v[24:25], off offset:1632
	v_add3_u32 v69, 0, v6, v114
	v_cmp_gt_u32_e32 vcc, 32, v68
	s_waitcnt lgkmcnt(0)
	v_add_f64 v[4:5], v[12:13], v[16:17]
	v_add_f64 v[26:27], v[18:19], v[14:15]
	v_add_f64 v[16:17], v[12:13], -v[16:17]
	v_add_f64 v[12:13], v[14:15], -v[18:19]
	s_waitcnt vmcnt(2)
	v_fma_f64 v[14:15], v[16:17], v[2:3], v[4:5]
	v_fma_f64 v[18:19], v[26:27], v[2:3], v[12:13]
	v_fma_f64 v[28:29], -v[16:17], v[2:3], v[4:5]
	v_fma_f64 v[30:31], v[26:27], v[2:3], -v[12:13]
	v_fma_f64 v[2:3], -v[26:27], v[0:1], v[14:15]
	v_fma_f64 v[4:5], v[16:17], v[0:1], v[18:19]
	v_fma_f64 v[12:13], v[26:27], v[0:1], v[28:29]
	v_fma_f64 v[14:15], v[16:17], v[0:1], v[30:31]
	ds_write_b128 v113, v[2:5] offset:544
	ds_write_b128 v7, v[12:15] offset:8160
	ds_read_b128 v[0:3], v113 offset:1088
	ds_read_b128 v[12:15], v7 offset:7616
	global_load_dwordx4 v[16:19], v[24:25], off offset:2176
	s_waitcnt lgkmcnt(0)
	v_add_f64 v[4:5], v[0:1], v[12:13]
	v_add_f64 v[26:27], v[14:15], v[2:3]
	v_add_f64 v[12:13], v[0:1], -v[12:13]
	v_add_f64 v[0:1], v[2:3], -v[14:15]
	s_waitcnt vmcnt(2)
	v_fma_f64 v[2:3], v[12:13], v[10:11], v[4:5]
	v_fma_f64 v[14:15], v[26:27], v[10:11], v[0:1]
	v_fma_f64 v[4:5], -v[12:13], v[10:11], v[4:5]
	v_fma_f64 v[28:29], v[26:27], v[10:11], -v[0:1]
	v_fma_f64 v[0:1], -v[26:27], v[8:9], v[2:3]
	v_fma_f64 v[2:3], v[12:13], v[8:9], v[14:15]
	v_fma_f64 v[10:11], v[26:27], v[8:9], v[4:5]
	v_fma_f64 v[12:13], v[12:13], v[8:9], v[28:29]
	ds_write_b128 v113, v[0:3] offset:1088
	ds_write_b128 v7, v[10:13] offset:7616
	ds_read_b128 v[0:3], v113 offset:1632
	ds_read_b128 v[8:11], v7 offset:7072
	global_load_dwordx4 v[12:15], v[24:25], off offset:2720
	;; [unrolled: 19-line block ×4, first 2 shown]
	s_waitcnt lgkmcnt(0)
	v_add_f64 v[4:5], v[0:1], v[8:9]
	v_add_f64 v[24:25], v[10:11], v[2:3]
	v_add_f64 v[26:27], v[0:1], -v[8:9]
	v_add_f64 v[0:1], v[2:3], -v[10:11]
	s_waitcnt vmcnt(2)
	v_fma_f64 v[2:3], v[26:27], v[14:15], v[4:5]
	v_fma_f64 v[8:9], v[24:25], v[14:15], v[0:1]
	v_fma_f64 v[4:5], -v[26:27], v[14:15], v[4:5]
	v_fma_f64 v[10:11], v[24:25], v[14:15], -v[0:1]
	v_fma_f64 v[0:1], -v[24:25], v[12:13], v[2:3]
	v_fma_f64 v[2:3], v[26:27], v[12:13], v[8:9]
	v_fma_f64 v[8:9], v[24:25], v[12:13], v[4:5]
	v_fma_f64 v[10:11], v[26:27], v[12:13], v[10:11]
	ds_write_b128 v113, v[0:3] offset:2720
	ds_write_b128 v7, v[8:11] offset:5984
	ds_read_b128 v[0:3], v113 offset:3264
	ds_read_b128 v[8:11], v7 offset:5440
	s_waitcnt lgkmcnt(0)
	v_add_f64 v[4:5], v[0:1], v[8:9]
	v_add_f64 v[12:13], v[10:11], v[2:3]
	v_add_f64 v[14:15], v[0:1], -v[8:9]
	v_add_f64 v[0:1], v[2:3], -v[10:11]
	s_waitcnt vmcnt(1)
	v_fma_f64 v[2:3], v[14:15], v[22:23], v[4:5]
	v_fma_f64 v[8:9], v[12:13], v[22:23], v[0:1]
	v_fma_f64 v[4:5], -v[14:15], v[22:23], v[4:5]
	v_fma_f64 v[10:11], v[12:13], v[22:23], -v[0:1]
	v_fma_f64 v[0:1], -v[12:13], v[20:21], v[2:3]
	v_fma_f64 v[2:3], v[14:15], v[20:21], v[8:9]
	v_fma_f64 v[8:9], v[12:13], v[20:21], v[4:5]
	;; [unrolled: 1-line block ×3, first 2 shown]
	ds_write_b128 v113, v[0:3] offset:3264
	ds_write_b128 v7, v[8:11] offset:5440
	ds_read_b128 v[0:3], v113 offset:3808
	ds_read_b128 v[8:11], v7 offset:4896
	s_waitcnt lgkmcnt(0)
	v_add_f64 v[4:5], v[0:1], v[8:9]
	v_add_f64 v[12:13], v[10:11], v[2:3]
	v_add_f64 v[14:15], v[0:1], -v[8:9]
	v_add_f64 v[0:1], v[2:3], -v[10:11]
	s_waitcnt vmcnt(0)
	v_fma_f64 v[2:3], v[14:15], v[18:19], v[4:5]
	v_fma_f64 v[8:9], v[12:13], v[18:19], v[0:1]
	v_fma_f64 v[4:5], -v[14:15], v[18:19], v[4:5]
	v_fma_f64 v[10:11], v[12:13], v[18:19], -v[0:1]
	v_fma_f64 v[0:1], -v[12:13], v[16:17], v[2:3]
	v_fma_f64 v[2:3], v[14:15], v[16:17], v[8:9]
	v_fma_f64 v[8:9], v[12:13], v[16:17], v[4:5]
	;; [unrolled: 1-line block ×3, first 2 shown]
	ds_write_b128 v113, v[0:3] offset:3808
	ds_write_b128 v7, v[8:11] offset:4896
	s_waitcnt lgkmcnt(0)
	s_barrier
	s_barrier
	ds_read_b128 v[0:3], v113
	ds_read_b128 v[44:47], v69 offset:512
	ds_read_b128 v[48:51], v69 offset:1024
	;; [unrolled: 1-line block ×16, first 2 shown]
	s_waitcnt lgkmcnt(0)
	s_barrier
	s_and_saveexec_b64 s[4:5], vcc
	s_cbranch_execz .LBB0_18
; %bb.17:
	v_add_f64 v[76:77], v[2:3], v[46:47]
	v_add_f64 v[78:79], v[0:1], v[44:45]
	;; [unrolled: 1-line block ×3, first 2 shown]
	v_add_f64 v[98:99], v[54:55], -v[34:35]
	v_add_f64 v[94:95], v[8:9], -v[12:13]
	s_mov_b32 s12, 0xacd6c6b4
	s_mov_b32 s13, 0xbfc7851a
	v_add_f64 v[80:81], v[40:41], -v[36:37]
	v_add_f64 v[84:85], v[76:77], v[50:51]
	v_add_f64 v[88:89], v[78:79], v[48:49]
	;; [unrolled: 1-line block ×5, first 2 shown]
	v_add_f64 v[82:83], v[42:43], -v[38:39]
	v_add_f64 v[96:97], v[52:53], -v[32:33]
	v_add_f64 v[90:91], v[62:63], v[30:31]
	v_add_f64 v[92:93], v[84:85], v[58:59]
	;; [unrolled: 1-line block ×4, first 2 shown]
	v_add_f64 v[100:101], v[62:63], -v[30:31]
	s_mov_b32 s6, 0x7faef3
	s_mov_b32 s16, 0x5d8e7cdc
	;; [unrolled: 1-line block ×4, first 2 shown]
	v_add_f64 v[110:111], v[92:93], v[66:67]
	v_add_f64 v[115:116], v[104:105], v[64:65]
	v_add_f64 v[102:103], v[60:61], -v[28:29]
	v_add_f64 v[88:89], v[60:61], v[28:29]
	v_add_f64 v[92:93], v[66:67], v[26:27]
	v_add_f64 v[104:105], v[66:67], -v[26:27]
	v_add_f64 v[108:109], v[56:57], -v[20:21]
	v_add_f64 v[66:67], v[58:59], v[22:23]
	v_add_f64 v[110:111], v[110:111], v[62:63]
	v_add_f64 v[115:116], v[115:116], v[60:61]
	v_add_f64 v[62:63], v[48:49], -v[16:17]
	v_add_f64 v[60:61], v[58:59], -v[22:23]
	v_add_f64 v[58:59], v[50:51], v[18:19]
	s_mov_b32 s10, 0x370991
	s_mov_b32 s22, 0x4363dd80
	;; [unrolled: 1-line block ×3, first 2 shown]
	v_add_f64 v[54:55], v[110:111], v[54:55]
	v_add_f64 v[115:116], v[115:116], v[52:53]
	v_add_f64 v[110:111], v[44:45], -v[4:5]
	v_add_f64 v[52:53], v[46:47], v[6:7]
	s_mov_b32 s23, 0xbfe0d888
	v_add_f64 v[106:107], v[64:65], -v[24:25]
	v_add_f64 v[46:47], v[46:47], -v[6:7]
	s_mov_b32 s14, 0x910ea3b9
	v_add_f64 v[54:55], v[54:55], v[10:11]
	v_add_f64 v[8:9], v[115:116], v[8:9]
	s_mov_b32 s40, 0x2a9d6da3
	s_mov_b32 s15, 0xbfeb34fa
	;; [unrolled: 1-line block ×3, first 2 shown]
	v_add_f64 v[50:51], v[50:51], -v[18:19]
	v_add_f64 v[44:45], v[44:45], v[4:5]
	v_mul_f64 v[115:116], v[46:47], s[12:13]
	v_add_f64 v[42:43], v[54:55], v[42:43]
	v_add_f64 v[8:9], v[8:9], v[40:41]
	v_mul_f64 v[40:41], v[110:111], s[12:13]
	s_mov_b32 s20, 0x75d4884
	s_mov_b32 s26, 0x6c9a05f6
	;; [unrolled: 1-line block ×4, first 2 shown]
	v_add_f64 v[48:49], v[48:49], v[16:17]
	v_add_f64 v[38:39], v[42:43], v[38:39]
	;; [unrolled: 1-line block ×3, first 2 shown]
	v_mul_f64 v[36:37], v[62:63], s[16:17]
	v_fma_f64 v[42:43], v[52:53], s[6:7], v[40:41]
	s_mov_b32 s18, 0x6ed5f1bb
	s_mov_b32 s30, 0x7c9e640b
	;; [unrolled: 1-line block ×4, first 2 shown]
	v_add_f64 v[38:39], v[38:39], v[14:15]
	v_add_f64 v[8:9], v[8:9], v[12:13]
	v_mul_f64 v[12:13], v[108:109], s[22:23]
	v_fma_f64 v[54:55], v[58:59], s[10:11], v[36:37]
	v_add_f64 v[42:43], v[2:3], v[42:43]
	v_add_f64 v[64:65], v[64:65], v[24:25]
	;; [unrolled: 1-line block ×3, first 2 shown]
	s_mov_b32 s24, 0x2b2883cd
	v_add_f64 v[34:35], v[38:39], v[34:35]
	v_add_f64 v[8:9], v[8:9], v[32:33]
	v_mul_f64 v[32:33], v[106:107], s[40:41]
	v_fma_f64 v[117:118], v[66:67], s[14:15], v[12:13]
	v_add_f64 v[42:43], v[54:55], v[42:43]
	v_mul_f64 v[38:39], v[50:51], s[16:17]
	v_fma_f64 v[54:55], v[44:45], s[6:7], -v[115:116]
	s_mov_b32 s25, 0x3fdc86fa
	v_add_f64 v[30:31], v[34:35], v[30:31]
	v_add_f64 v[8:9], v[8:9], v[28:29]
	v_mul_f64 v[28:29], v[102:103], s[26:27]
	v_fma_f64 v[119:120], v[92:93], s[20:21], v[32:33]
	v_add_f64 v[42:43], v[117:118], v[42:43]
	v_mul_f64 v[34:35], v[60:61], s[22:23]
	v_fma_f64 v[121:122], v[48:49], s[10:11], -v[38:39]
	v_add_f64 v[54:55], v[0:1], v[54:55]
	v_add_f64 v[26:27], v[30:31], v[26:27]
	;; [unrolled: 1-line block ×3, first 2 shown]
	v_mul_f64 v[24:25], v[96:97], s[30:31]
	v_fma_f64 v[117:118], v[90:91], s[18:19], v[28:29]
	v_add_f64 v[42:43], v[119:120], v[42:43]
	v_mul_f64 v[30:31], v[104:105], s[40:41]
	v_fma_f64 v[123:124], v[56:57], s[14:15], -v[34:35]
	v_add_f64 v[54:55], v[121:122], v[54:55]
	v_add_f64 v[22:23], v[26:27], v[22:23]
	;; [unrolled: 1-line block ×3, first 2 shown]
	v_fma_f64 v[26:27], v[86:87], s[24:25], v[24:25]
	s_mov_b32 s36, 0x923c349f
	v_add_f64 v[42:43], v[117:118], v[42:43]
	s_mov_b32 s37, 0xbfeec746
	v_add_f64 v[78:79], v[10:11], v[14:15]
	v_mul_f64 v[20:21], v[100:101], s[26:27]
	v_fma_f64 v[117:118], v[64:65], s[20:21], -v[30:31]
	v_add_f64 v[54:55], v[123:124], v[54:55]
	v_add_f64 v[18:19], v[22:23], v[18:19]
	;; [unrolled: 1-line block ×3, first 2 shown]
	v_mul_f64 v[16:17], v[94:95], s[36:37]
	v_add_f64 v[22:23], v[26:27], v[42:43]
	v_fma_f64 v[26:27], v[52:53], s[6:7], -v[40:41]
	s_mov_b32 s28, 0xc61f0d01
	s_mov_b32 s29, 0xbfd183b1
	v_add_f64 v[40:41], v[117:118], v[54:55]
	v_fma_f64 v[42:43], v[88:89], s[18:19], -v[20:21]
	v_mul_f64 v[117:118], v[98:99], s[30:31]
	v_fma_f64 v[119:120], v[78:79], s[28:29], v[16:17]
	v_fma_f64 v[36:37], v[58:59], s[10:11], -v[36:37]
	v_add_f64 v[26:27], v[2:3], v[26:27]
	v_add_f64 v[54:55], v[10:11], -v[14:15]
	v_fma_f64 v[14:15], v[44:45], s[6:7], v[115:116]
	v_add_f64 v[6:7], v[18:19], v[6:7]
	v_add_f64 v[10:11], v[42:43], v[40:41]
	v_fma_f64 v[40:41], v[84:85], s[24:25], -v[117:118]
	v_add_f64 v[4:5], v[8:9], v[4:5]
	v_add_f64 v[8:9], v[119:120], v[22:23]
	;; [unrolled: 1-line block ×3, first 2 shown]
	v_fma_f64 v[12:13], v[66:67], s[14:15], -v[12:13]
	v_fma_f64 v[22:23], v[48:49], s[10:11], v[38:39]
	v_add_f64 v[14:15], v[0:1], v[14:15]
	v_mul_f64 v[26:27], v[54:55], s[36:37]
	s_mov_b32 s54, 0xeb564b22
	s_mov_b32 s55, 0x3fefdd0d
	v_add_f64 v[10:11], v[40:41], v[10:11]
	v_mul_f64 v[36:37], v[80:81], s[54:55]
	v_add_f64 v[12:13], v[12:13], v[18:19]
	v_mul_f64 v[18:19], v[110:111], s[22:23]
	v_fma_f64 v[32:33], v[92:93], s[20:21], -v[32:33]
	v_add_f64 v[14:15], v[22:23], v[14:15]
	v_fma_f64 v[22:23], v[56:57], s[14:15], v[34:35]
	v_fma_f64 v[34:35], v[76:77], s[28:29], -v[26:27]
	s_mov_b32 s34, 0x3259b75e
	s_mov_b32 s35, 0x3fb79ee6
	v_fma_f64 v[38:39], v[74:75], s[34:35], v[36:37]
	v_fma_f64 v[40:41], v[52:53], s[14:15], v[18:19]
	v_mul_f64 v[42:43], v[62:63], s[30:31]
	v_add_f64 v[12:13], v[32:33], v[12:13]
	v_fma_f64 v[28:29], v[90:91], s[18:19], -v[28:29]
	v_add_f64 v[14:15], v[22:23], v[14:15]
	v_fma_f64 v[22:23], v[64:65], s[20:21], v[30:31]
	v_add_f64 v[30:31], v[34:35], v[10:11]
	v_mul_f64 v[34:35], v[46:47], s[22:23]
	s_mov_b32 s39, 0xbfefdd0d
	s_mov_b32 s38, s54
	v_add_f64 v[10:11], v[38:39], v[8:9]
	v_add_f64 v[8:9], v[2:3], v[40:41]
	v_fma_f64 v[32:33], v[58:59], s[24:25], v[42:43]
	v_mul_f64 v[38:39], v[108:109], s[38:39]
	v_add_f64 v[12:13], v[28:29], v[12:13]
	v_add_f64 v[14:15], v[22:23], v[14:15]
	v_fma_f64 v[22:23], v[44:45], s[14:15], -v[34:35]
	v_mul_f64 v[28:29], v[50:51], s[30:31]
	s_mov_b32 s49, 0x3fe9895b
	s_mov_b32 s48, s26
	v_fma_f64 v[24:25], v[86:87], s[24:25], -v[24:25]
	v_add_f64 v[8:9], v[32:33], v[8:9]
	v_fma_f64 v[32:33], v[66:67], s[34:35], v[38:39]
	v_mul_f64 v[115:116], v[106:107], s[48:49]
	v_add_f64 v[22:23], v[0:1], v[22:23]
	v_fma_f64 v[121:122], v[48:49], s[24:25], -v[28:29]
	v_mul_f64 v[123:124], v[60:61], s[38:39]
	s_mov_b32 s43, 0xbfd71e95
	s_mov_b32 s42, s16
	v_mul_f64 v[40:41], v[82:83], s[54:55]
	v_fma_f64 v[20:21], v[88:89], s[18:19], v[20:21]
	v_add_f64 v[12:13], v[24:25], v[12:13]
	v_add_f64 v[8:9], v[32:33], v[8:9]
	v_fma_f64 v[24:25], v[92:93], s[18:19], v[115:116]
	v_mul_f64 v[32:33], v[102:103], s[42:43]
	v_add_f64 v[22:23], v[121:122], v[22:23]
	v_fma_f64 v[121:122], v[56:57], s[34:35], -v[123:124]
	v_mul_f64 v[125:126], v[104:105], s[48:49]
	v_fma_f64 v[119:120], v[72:73], s[34:35], -v[40:41]
	v_add_f64 v[14:15], v[20:21], v[14:15]
	v_fma_f64 v[20:21], v[84:85], s[24:25], v[117:118]
	v_add_f64 v[24:25], v[24:25], v[8:9]
	v_fma_f64 v[117:118], v[90:91], s[10:11], v[32:33]
	v_mul_f64 v[127:128], v[96:97], s[12:13]
	v_add_f64 v[22:23], v[121:122], v[22:23]
	v_fma_f64 v[121:122], v[64:65], s[18:19], -v[125:126]
	v_mul_f64 v[129:130], v[100:101], s[42:43]
	v_fma_f64 v[16:17], v[78:79], s[28:29], -v[16:17]
	v_add_f64 v[8:9], v[119:120], v[30:31]
	v_add_f64 v[14:15], v[20:21], v[14:15]
	v_fma_f64 v[20:21], v[76:77], s[28:29], v[26:27]
	v_add_f64 v[24:25], v[117:118], v[24:25]
	v_fma_f64 v[26:27], v[86:87], s[6:7], v[127:128]
	v_mul_f64 v[30:31], v[94:95], s[40:41]
	v_add_f64 v[22:23], v[121:122], v[22:23]
	v_fma_f64 v[117:118], v[88:89], s[10:11], -v[129:130]
	v_mul_f64 v[119:120], v[98:99], s[12:13]
	v_fma_f64 v[18:19], v[52:53], s[14:15], -v[18:19]
	v_add_f64 v[12:13], v[16:17], v[12:13]
	v_add_f64 v[14:15], v[20:21], v[14:15]
	v_fma_f64 v[16:17], v[74:75], s[34:35], -v[36:37]
	v_add_f64 v[20:21], v[26:27], v[24:25]
	v_fma_f64 v[24:25], v[78:79], s[20:21], v[30:31]
	v_add_f64 v[22:23], v[117:118], v[22:23]
	v_fma_f64 v[26:27], v[84:85], s[6:7], -v[119:120]
	v_mul_f64 v[36:37], v[54:55], s[40:41]
	v_mul_f64 v[117:118], v[80:81], s[36:37]
	v_fma_f64 v[42:43], v[58:59], s[24:25], -v[42:43]
	v_fma_f64 v[34:35], v[44:45], s[14:15], v[34:35]
	v_add_f64 v[121:122], v[2:3], v[18:19]
	v_fma_f64 v[40:41], v[72:73], s[34:35], v[40:41]
	v_add_f64 v[20:21], v[24:25], v[20:21]
	v_add_f64 v[22:23], v[26:27], v[22:23]
	v_fma_f64 v[24:25], v[76:77], s[20:21], -v[36:37]
	v_fma_f64 v[26:27], v[74:75], s[28:29], v[117:118]
	v_add_f64 v[18:19], v[16:17], v[12:13]
	v_fma_f64 v[12:13], v[48:49], s[24:25], v[28:29]
	v_add_f64 v[28:29], v[0:1], v[34:35]
	v_add_f64 v[34:35], v[42:43], v[121:122]
	v_fma_f64 v[38:39], v[66:67], s[34:35], -v[38:39]
	v_add_f64 v[16:17], v[40:41], v[14:15]
	v_add_f64 v[22:23], v[24:25], v[22:23]
	v_add_f64 v[14:15], v[26:27], v[20:21]
	v_mul_f64 v[20:21], v[110:111], s[26:27]
	v_mul_f64 v[24:25], v[82:83], s[36:37]
	v_add_f64 v[12:13], v[12:13], v[28:29]
	v_fma_f64 v[26:27], v[56:57], s[34:35], v[123:124]
	v_add_f64 v[28:29], v[38:39], v[34:35]
	v_fma_f64 v[34:35], v[92:93], s[18:19], -v[115:116]
	s_mov_b32 s45, 0x3feec746
	s_mov_b32 s44, s36
	v_fma_f64 v[38:39], v[52:53], s[18:19], v[20:21]
	v_mul_f64 v[40:41], v[62:63], s[44:45]
	v_fma_f64 v[42:43], v[72:73], s[28:29], -v[24:25]
	v_add_f64 v[26:27], v[26:27], v[12:13]
	v_fma_f64 v[115:116], v[64:65], s[18:19], v[125:126]
	v_add_f64 v[28:29], v[34:35], v[28:29]
	v_fma_f64 v[32:33], v[90:91], s[10:11], -v[32:33]
	v_mul_f64 v[34:35], v[46:47], s[26:27]
	v_add_f64 v[38:39], v[2:3], v[38:39]
	v_fma_f64 v[121:122], v[58:59], s[28:29], v[40:41]
	v_mul_f64 v[123:124], v[108:109], s[42:43]
	v_add_f64 v[12:13], v[42:43], v[22:23]
	v_add_f64 v[22:23], v[115:116], v[26:27]
	v_fma_f64 v[26:27], v[88:89], s[10:11], v[129:130]
	v_add_f64 v[28:29], v[32:33], v[28:29]
	v_fma_f64 v[32:33], v[44:45], s[18:19], -v[34:35]
	v_mul_f64 v[42:43], v[50:51], s[44:45]
	v_add_f64 v[38:39], v[121:122], v[38:39]
	v_fma_f64 v[115:116], v[66:67], s[10:11], v[123:124]
	v_mul_f64 v[121:122], v[106:107], s[22:23]
	v_fma_f64 v[125:126], v[86:87], s[6:7], -v[127:128]
	v_add_f64 v[22:23], v[26:27], v[22:23]
	v_fma_f64 v[26:27], v[84:85], s[6:7], v[119:120]
	v_add_f64 v[32:33], v[0:1], v[32:33]
	v_fma_f64 v[119:120], v[48:49], s[28:29], -v[42:43]
	v_mul_f64 v[127:128], v[60:61], s[42:43]
	v_add_f64 v[38:39], v[115:116], v[38:39]
	v_fma_f64 v[115:116], v[92:93], s[14:15], v[121:122]
	v_mul_f64 v[129:130], v[102:103], s[54:55]
	s_mov_b32 s47, 0xbfe58eea
	v_add_f64 v[22:23], v[26:27], v[22:23]
	s_mov_b32 s46, s40
	v_add_f64 v[26:27], v[119:120], v[32:33]
	v_fma_f64 v[32:33], v[56:57], s[10:11], -v[127:128]
	v_mul_f64 v[119:120], v[104:105], s[22:23]
	v_add_f64 v[28:29], v[125:126], v[28:29]
	v_fma_f64 v[30:31], v[78:79], s[20:21], -v[30:31]
	v_fma_f64 v[36:37], v[76:77], s[20:21], v[36:37]
	v_add_f64 v[38:39], v[115:116], v[38:39]
	v_fma_f64 v[115:116], v[90:91], s[34:35], v[129:130]
	v_mul_f64 v[125:126], v[96:97], s[46:47]
	v_add_f64 v[26:27], v[32:33], v[26:27]
	v_fma_f64 v[32:33], v[64:65], s[14:15], -v[119:120]
	v_mul_f64 v[131:132], v[100:101], s[54:55]
	v_fma_f64 v[20:21], v[52:53], s[18:19], -v[20:21]
	v_add_f64 v[28:29], v[30:31], v[28:29]
	v_add_f64 v[30:31], v[36:37], v[22:23]
	v_fma_f64 v[22:23], v[74:75], s[28:29], -v[117:118]
	v_add_f64 v[36:37], v[115:116], v[38:39]
	v_mul_f64 v[38:39], v[98:99], s[46:47]
	v_add_f64 v[26:27], v[32:33], v[26:27]
	v_fma_f64 v[32:33], v[88:89], s[34:35], -v[131:132]
	v_fma_f64 v[40:41], v[58:59], s[28:29], -v[40:41]
	v_add_f64 v[20:21], v[2:3], v[20:21]
	v_fma_f64 v[115:116], v[86:87], s[20:21], v[125:126]
	v_mul_f64 v[117:118], v[94:95], s[12:13]
	v_fma_f64 v[34:35], v[44:45], s[18:19], v[34:35]
	v_fma_f64 v[24:25], v[72:73], s[28:29], v[24:25]
	v_add_f64 v[22:23], v[22:23], v[28:29]
	v_add_f64 v[26:27], v[32:33], v[26:27]
	v_fma_f64 v[28:29], v[84:85], s[20:21], -v[38:39]
	v_mul_f64 v[32:33], v[54:55], s[12:13]
	v_add_f64 v[20:21], v[40:41], v[20:21]
	v_fma_f64 v[40:41], v[66:67], s[10:11], -v[123:124]
	v_fma_f64 v[42:43], v[48:49], s[28:29], v[42:43]
	v_add_f64 v[34:35], v[0:1], v[34:35]
	v_add_f64 v[36:37], v[115:116], v[36:37]
	v_fma_f64 v[115:116], v[78:79], s[6:7], v[117:118]
	v_add_f64 v[26:27], v[28:29], v[26:27]
	v_fma_f64 v[28:29], v[76:77], s[6:7], -v[32:33]
	v_mul_f64 v[123:124], v[80:81], s[30:31]
	v_add_f64 v[40:41], v[40:41], v[20:21]
	v_fma_f64 v[121:122], v[92:93], s[14:15], -v[121:122]
	v_add_f64 v[34:35], v[42:43], v[34:35]
	v_fma_f64 v[42:43], v[56:57], s[10:11], v[127:128]
	v_add_f64 v[20:21], v[24:25], v[30:31]
	v_add_f64 v[24:25], v[115:116], v[36:37]
	v_mul_f64 v[36:37], v[110:111], s[36:37]
	s_mov_b32 s51, 0x3fe0d888
	s_mov_b32 s50, s22
	v_add_f64 v[28:29], v[28:29], v[26:27]
	v_fma_f64 v[26:27], v[74:75], s[24:25], v[123:124]
	v_add_f64 v[30:31], v[121:122], v[40:41]
	v_add_f64 v[34:35], v[42:43], v[34:35]
	v_fma_f64 v[42:43], v[64:65], s[14:15], v[119:120]
	v_fma_f64 v[119:120], v[52:53], s[28:29], v[36:37]
	v_mul_f64 v[121:122], v[62:63], s[50:51]
	v_fma_f64 v[40:41], v[90:91], s[34:35], -v[129:130]
	v_mul_f64 v[127:128], v[108:109], s[40:41]
	v_add_f64 v[26:27], v[26:27], v[24:25]
	s_mov_b32 s53, 0xbfeca52d
	s_mov_b32 s52, s30
	v_add_f64 v[34:35], v[42:43], v[34:35]
	v_fma_f64 v[42:43], v[88:89], s[34:35], v[131:132]
	v_add_f64 v[24:25], v[2:3], v[119:120]
	v_fma_f64 v[119:120], v[58:59], s[14:15], v[121:122]
	v_add_f64 v[30:31], v[40:41], v[30:31]
	v_fma_f64 v[40:41], v[86:87], s[20:21], -v[125:126]
	v_mul_f64 v[125:126], v[46:47], s[36:37]
	v_fma_f64 v[38:39], v[84:85], s[20:21], v[38:39]
	v_mul_f64 v[131:132], v[106:107], s[52:53]
	v_add_f64 v[34:35], v[42:43], v[34:35]
	v_mul_f64 v[115:116], v[82:83], s[30:31]
	v_add_f64 v[24:25], v[119:120], v[24:25]
	v_fma_f64 v[119:120], v[66:67], s[20:21], v[127:128]
	v_add_f64 v[30:31], v[40:41], v[30:31]
	v_fma_f64 v[40:41], v[44:45], s[28:29], -v[125:126]
	v_mul_f64 v[42:43], v[50:51], s[50:51]
	v_fma_f64 v[117:118], v[78:79], s[6:7], -v[117:118]
	v_add_f64 v[34:35], v[38:39], v[34:35]
	v_fma_f64 v[32:33], v[76:77], s[6:7], v[32:33]
	v_fma_f64 v[38:39], v[92:93], s[24:25], v[131:132]
	v_add_f64 v[24:25], v[119:120], v[24:25]
	v_mul_f64 v[119:120], v[102:103], s[12:13]
	v_fma_f64 v[129:130], v[72:73], s[24:25], -v[115:116]
	v_add_f64 v[40:41], v[0:1], v[40:41]
	v_fma_f64 v[133:134], v[48:49], s[14:15], -v[42:43]
	v_mul_f64 v[135:136], v[60:61], s[40:41]
	v_add_f64 v[30:31], v[117:118], v[30:31]
	v_add_f64 v[32:33], v[32:33], v[34:35]
	v_fma_f64 v[34:35], v[74:75], s[24:25], -v[123:124]
	v_fma_f64 v[115:116], v[72:73], s[24:25], v[115:116]
	v_add_f64 v[38:39], v[38:39], v[24:25]
	v_fma_f64 v[117:118], v[90:91], s[6:7], v[119:120]
	v_add_f64 v[40:41], v[133:134], v[40:41]
	v_fma_f64 v[133:134], v[56:57], s[20:21], -v[135:136]
	v_mul_f64 v[137:138], v[104:105], s[52:53]
	v_add_f64 v[24:25], v[129:130], v[28:29]
	v_add_f64 v[30:31], v[34:35], v[30:31]
	v_add_f64 v[28:29], v[115:116], v[32:33]
	v_fma_f64 v[34:35], v[52:53], s[28:29], -v[36:37]
	v_add_f64 v[32:33], v[117:118], v[38:39]
	v_fma_f64 v[38:39], v[44:45], s[28:29], v[125:126]
	v_add_f64 v[40:41], v[133:134], v[40:41]
	v_fma_f64 v[123:124], v[64:65], s[24:25], -v[137:138]
	v_mul_f64 v[129:130], v[100:101], s[12:13]
	v_mul_f64 v[133:134], v[96:97], s[54:55]
	v_fma_f64 v[121:122], v[58:59], s[14:15], -v[121:122]
	v_add_f64 v[34:35], v[2:3], v[34:35]
	v_fma_f64 v[42:43], v[48:49], s[14:15], v[42:43]
	v_add_f64 v[38:39], v[0:1], v[38:39]
	v_mul_f64 v[115:116], v[98:99], s[54:55]
	v_add_f64 v[36:37], v[123:124], v[40:41]
	v_fma_f64 v[40:41], v[88:89], s[6:7], -v[129:130]
	v_fma_f64 v[117:118], v[86:87], s[34:35], v[133:134]
	v_mul_f64 v[123:124], v[94:95], s[42:43]
	v_add_f64 v[34:35], v[121:122], v[34:35]
	v_fma_f64 v[121:122], v[66:67], s[20:21], -v[127:128]
	v_add_f64 v[38:39], v[42:43], v[38:39]
	v_fma_f64 v[42:43], v[56:57], s[20:21], v[135:136]
	v_mul_f64 v[125:126], v[54:55], s[42:43]
	v_add_f64 v[36:37], v[40:41], v[36:37]
	v_fma_f64 v[40:41], v[84:85], s[34:35], -v[115:116]
	v_add_f64 v[32:33], v[117:118], v[32:33]
	v_fma_f64 v[117:118], v[78:79], s[10:11], v[123:124]
	v_add_f64 v[34:35], v[121:122], v[34:35]
	v_fma_f64 v[121:122], v[92:93], s[24:25], -v[131:132]
	v_add_f64 v[38:39], v[42:43], v[38:39]
	v_fma_f64 v[42:43], v[64:65], s[24:25], v[137:138]
	v_mul_f64 v[127:128], v[80:81], s[26:27]
	v_add_f64 v[36:37], v[40:41], v[36:37]
	v_fma_f64 v[40:41], v[76:77], s[10:11], -v[125:126]
	v_add_f64 v[32:33], v[117:118], v[32:33]
	v_mul_f64 v[117:118], v[110:111], s[38:39]
	v_add_f64 v[121:122], v[121:122], v[34:35]
	v_fma_f64 v[119:120], v[90:91], s[6:7], -v[119:120]
	v_add_f64 v[38:39], v[42:43], v[38:39]
	v_fma_f64 v[42:43], v[88:89], s[6:7], v[129:130]
	v_mul_f64 v[131:132], v[82:83], s[26:27]
	v_add_f64 v[36:37], v[40:41], v[36:37]
	v_fma_f64 v[40:41], v[74:75], s[18:19], v[127:128]
	v_fma_f64 v[135:136], v[52:53], s[34:35], v[117:118]
	v_mul_f64 v[137:138], v[62:63], s[12:13]
	v_add_f64 v[119:120], v[119:120], v[121:122]
	v_fma_f64 v[121:122], v[86:87], s[34:35], -v[133:134]
	v_add_f64 v[38:39], v[42:43], v[38:39]
	v_fma_f64 v[42:43], v[84:85], s[34:35], v[115:116]
	v_mul_f64 v[115:116], v[46:47], s[38:39]
	v_add_f64 v[34:35], v[40:41], v[32:33]
	v_fma_f64 v[32:33], v[72:73], s[18:19], -v[131:132]
	v_add_f64 v[40:41], v[2:3], v[135:136]
	;; [unrolled: 5-line block ×3, first 2 shown]
	v_fma_f64 v[42:43], v[44:45], s[34:35], -v[115:116]
	v_mul_f64 v[123:124], v[50:51], s[12:13]
	v_add_f64 v[32:33], v[32:33], v[36:37]
	v_add_f64 v[36:37], v[129:130], v[40:41]
	v_fma_f64 v[40:41], v[66:67], s[28:29], v[135:136]
	v_mul_f64 v[129:130], v[106:107], s[16:17]
	v_fma_f64 v[125:126], v[76:77], s[10:11], v[125:126]
	v_add_f64 v[119:120], v[121:122], v[119:120]
	v_fma_f64 v[121:122], v[74:75], s[18:19], -v[127:128]
	v_add_f64 v[42:43], v[0:1], v[42:43]
	v_fma_f64 v[127:128], v[48:49], s[6:7], -v[123:124]
	v_mul_f64 v[139:140], v[60:61], s[44:45]
	v_fma_f64 v[117:118], v[52:53], s[34:35], -v[117:118]
	v_add_f64 v[36:37], v[40:41], v[36:37]
	v_fma_f64 v[40:41], v[92:93], s[10:11], v[129:130]
	v_mul_f64 v[133:134], v[102:103], s[52:53]
	v_add_f64 v[125:126], v[125:126], v[38:39]
	v_add_f64 v[38:39], v[121:122], v[119:120]
	;; [unrolled: 1-line block ×3, first 2 shown]
	v_fma_f64 v[115:116], v[44:45], s[34:35], v[115:116]
	v_fma_f64 v[119:120], v[56:57], s[28:29], -v[139:140]
	v_mul_f64 v[121:122], v[104:105], s[16:17]
	v_fma_f64 v[127:128], v[58:59], s[6:7], -v[137:138]
	v_add_f64 v[117:118], v[2:3], v[117:118]
	v_add_f64 v[36:37], v[40:41], v[36:37]
	v_fma_f64 v[40:41], v[90:91], s[24:25], v[133:134]
	v_fma_f64 v[123:124], v[48:49], s[6:7], v[123:124]
	v_add_f64 v[115:116], v[0:1], v[115:116]
	v_add_f64 v[42:43], v[119:120], v[42:43]
	v_fma_f64 v[119:120], v[64:65], s[10:11], -v[121:122]
	v_mul_f64 v[137:138], v[100:101], s[52:53]
	v_add_f64 v[117:118], v[127:128], v[117:118]
	v_fma_f64 v[127:128], v[66:67], s[28:29], -v[135:136]
	v_add_f64 v[36:37], v[40:41], v[36:37]
	v_mul_f64 v[40:41], v[96:97], s[22:23]
	v_add_f64 v[115:116], v[123:124], v[115:116]
	v_fma_f64 v[123:124], v[56:57], s[28:29], v[139:140]
	v_add_f64 v[42:43], v[119:120], v[42:43]
	v_fma_f64 v[119:120], v[88:89], s[24:25], -v[137:138]
	v_mul_f64 v[135:136], v[98:99], s[22:23]
	v_add_f64 v[117:118], v[127:128], v[117:118]
	v_fma_f64 v[127:128], v[92:93], s[10:11], -v[129:130]
	v_fma_f64 v[131:132], v[72:73], s[18:19], v[131:132]
	v_fma_f64 v[141:142], v[86:87], s[14:15], v[40:41]
	v_mul_f64 v[143:144], v[94:95], s[48:49]
	v_add_f64 v[115:116], v[123:124], v[115:116]
	v_fma_f64 v[121:122], v[64:65], s[10:11], v[121:122]
	v_add_f64 v[42:43], v[119:120], v[42:43]
	v_fma_f64 v[119:120], v[84:85], s[14:15], -v[135:136]
	v_mul_f64 v[123:124], v[54:55], s[48:49]
	v_add_f64 v[117:118], v[127:128], v[117:118]
	v_fma_f64 v[127:128], v[90:91], s[24:25], -v[133:134]
	v_add_f64 v[139:140], v[141:142], v[36:37]
	v_fma_f64 v[141:142], v[78:79], s[18:19], v[143:144]
	v_add_f64 v[36:37], v[131:132], v[125:126]
	v_add_f64 v[115:116], v[121:122], v[115:116]
	v_fma_f64 v[121:122], v[88:89], s[24:25], v[137:138]
	v_add_f64 v[42:43], v[119:120], v[42:43]
	v_mul_f64 v[119:120], v[110:111], s[52:53]
	v_fma_f64 v[129:130], v[76:77], s[18:19], -v[123:124]
	v_mul_f64 v[131:132], v[80:81], s[40:41]
	v_add_f64 v[117:118], v[127:128], v[117:118]
	v_fma_f64 v[40:41], v[86:87], s[14:15], -v[40:41]
	v_add_f64 v[125:126], v[141:142], v[139:140]
	v_mul_f64 v[133:134], v[82:83], s[40:41]
	v_add_f64 v[115:116], v[121:122], v[115:116]
	v_fma_f64 v[121:122], v[84:85], s[14:15], v[135:136]
	v_fma_f64 v[127:128], v[52:53], s[24:25], v[119:120]
	v_mul_f64 v[135:136], v[62:63], s[26:27]
	v_add_f64 v[129:130], v[129:130], v[42:43]
	v_fma_f64 v[42:43], v[74:75], s[20:21], v[131:132]
	v_add_f64 v[117:118], v[40:41], v[117:118]
	v_fma_f64 v[139:140], v[78:79], s[18:19], -v[143:144]
	s_mov_b32 s49, 0x3fc7851a
	s_mov_b32 s48, s12
	v_fma_f64 v[137:138], v[72:73], s[20:21], -v[133:134]
	v_add_f64 v[115:116], v[121:122], v[115:116]
	v_add_f64 v[121:122], v[2:3], v[127:128]
	v_fma_f64 v[127:128], v[58:59], s[18:19], v[135:136]
	v_mul_f64 v[141:142], v[108:109], s[48:49]
	v_fma_f64 v[123:124], v[76:77], s[18:19], v[123:124]
	v_mul_f64 v[143:144], v[46:47], s[52:53]
	v_add_f64 v[42:43], v[42:43], v[125:126]
	v_add_f64 v[117:118], v[139:140], v[117:118]
	v_fma_f64 v[125:126], v[74:75], s[20:21], -v[131:132]
	v_add_f64 v[40:41], v[137:138], v[129:130]
	v_add_f64 v[121:122], v[127:128], v[121:122]
	v_fma_f64 v[127:128], v[66:67], s[6:7], v[141:142]
	v_add_f64 v[115:116], v[123:124], v[115:116]
	v_fma_f64 v[123:124], v[44:45], s[24:25], -v[143:144]
	v_mul_f64 v[129:130], v[50:51], s[26:27]
	v_fma_f64 v[119:120], v[52:53], s[24:25], -v[119:120]
	v_add_f64 v[117:118], v[125:126], v[117:118]
	v_fma_f64 v[125:126], v[44:45], s[24:25], v[143:144]
	v_fma_f64 v[131:132], v[72:73], s[20:21], v[133:134]
	v_mul_f64 v[133:134], v[106:107], s[44:45]
	v_add_f64 v[121:122], v[127:128], v[121:122]
	v_add_f64 v[123:124], v[0:1], v[123:124]
	v_fma_f64 v[127:128], v[48:49], s[18:19], -v[129:130]
	v_mul_f64 v[137:138], v[60:61], s[48:49]
	v_fma_f64 v[135:136], v[58:59], s[18:19], -v[135:136]
	v_add_f64 v[119:120], v[2:3], v[119:120]
	v_fma_f64 v[129:130], v[48:49], s[18:19], v[129:130]
	v_add_f64 v[125:126], v[0:1], v[125:126]
	v_fma_f64 v[139:140], v[92:93], s[28:29], v[133:134]
	v_mul_f64 v[145:146], v[104:105], s[44:45]
	v_add_f64 v[123:124], v[127:128], v[123:124]
	v_fma_f64 v[127:128], v[56:57], s[6:7], -v[137:138]
	v_mul_f64 v[143:144], v[102:103], s[40:41]
	v_add_f64 v[119:120], v[135:136], v[119:120]
	v_fma_f64 v[135:136], v[66:67], s[6:7], -v[141:142]
	v_add_f64 v[125:126], v[129:130], v[125:126]
	v_fma_f64 v[129:130], v[56:57], s[6:7], v[137:138]
	v_add_f64 v[121:122], v[139:140], v[121:122]
	v_mul_f64 v[139:140], v[100:101], s[40:41]
	v_add_f64 v[123:124], v[127:128], v[123:124]
	v_fma_f64 v[127:128], v[64:65], s[28:29], -v[145:146]
	v_fma_f64 v[133:134], v[92:93], s[28:29], -v[133:134]
	v_add_f64 v[119:120], v[135:136], v[119:120]
	v_fma_f64 v[137:138], v[90:91], s[20:21], v[143:144]
	v_add_f64 v[125:126], v[129:130], v[125:126]
	v_fma_f64 v[129:130], v[64:65], s[28:29], v[145:146]
	v_mul_f64 v[141:142], v[96:97], s[42:43]
	v_mul_f64 v[135:136], v[98:99], s[42:43]
	v_add_f64 v[123:124], v[127:128], v[123:124]
	v_fma_f64 v[127:128], v[88:89], s[20:21], -v[139:140]
	v_add_f64 v[119:120], v[133:134], v[119:120]
	v_fma_f64 v[133:134], v[90:91], s[20:21], -v[143:144]
	v_add_f64 v[121:122], v[137:138], v[121:122]
	v_add_f64 v[125:126], v[129:130], v[125:126]
	v_fma_f64 v[129:130], v[88:89], s[20:21], v[139:140]
	v_fma_f64 v[137:138], v[86:87], s[10:11], v[141:142]
	v_mul_f64 v[139:140], v[94:95], s[38:39]
	v_add_f64 v[123:124], v[127:128], v[123:124]
	v_fma_f64 v[127:128], v[84:85], s[10:11], -v[135:136]
	v_mul_f64 v[143:144], v[54:55], s[38:39]
	v_add_f64 v[119:120], v[133:134], v[119:120]
	v_fma_f64 v[133:134], v[86:87], s[10:11], -v[141:142]
	v_add_f64 v[125:126], v[129:130], v[125:126]
	v_fma_f64 v[129:130], v[84:85], s[10:11], v[135:136]
	v_add_f64 v[121:122], v[137:138], v[121:122]
	v_fma_f64 v[135:136], v[78:79], s[34:35], v[139:140]
	v_add_f64 v[123:124], v[127:128], v[123:124]
	v_fma_f64 v[127:128], v[76:77], s[34:35], -v[143:144]
	v_mul_f64 v[137:138], v[80:81], s[22:23]
	v_mul_f64 v[141:142], v[82:83], s[22:23]
	v_add_f64 v[119:120], v[133:134], v[119:120]
	v_fma_f64 v[133:134], v[78:79], s[34:35], -v[139:140]
	v_add_f64 v[125:126], v[129:130], v[125:126]
	v_fma_f64 v[129:130], v[76:77], s[34:35], v[143:144]
	v_add_f64 v[115:116], v[131:132], v[115:116]
	v_mul_f64 v[131:132], v[110:111], s[46:47]
	v_add_f64 v[121:122], v[135:136], v[121:122]
	v_add_f64 v[123:124], v[127:128], v[123:124]
	v_fma_f64 v[127:128], v[74:75], s[14:15], v[137:138]
	v_fma_f64 v[135:136], v[72:73], s[14:15], -v[141:142]
	v_add_f64 v[133:134], v[133:134], v[119:120]
	v_add_f64 v[129:130], v[129:130], v[125:126]
	v_fma_f64 v[125:126], v[74:75], s[14:15], -v[137:138]
	v_fma_f64 v[137:138], v[72:73], s[14:15], v[141:142]
	v_fma_f64 v[139:140], v[52:53], s[20:21], -v[131:132]
	v_mul_f64 v[141:142], v[62:63], s[38:39]
	v_mul_f64 v[110:111], v[110:111], s[42:43]
	v_add_f64 v[119:120], v[135:136], v[123:124]
	v_mul_f64 v[135:136], v[108:109], s[26:27]
	v_add_f64 v[121:122], v[127:128], v[121:122]
	v_add_f64 v[125:126], v[125:126], v[133:134]
	;; [unrolled: 1-line block ×4, first 2 shown]
	v_fma_f64 v[133:134], v[58:59], s[34:35], -v[141:142]
	v_mul_f64 v[127:128], v[46:47], s[46:47]
	v_fma_f64 v[131:132], v[52:53], s[20:21], v[131:132]
	v_fma_f64 v[137:138], v[52:53], s[10:11], v[110:111]
	v_fma_f64 v[52:53], v[52:53], s[10:11], -v[110:111]
	v_mul_f64 v[46:47], v[46:47], s[42:43]
	v_mul_f64 v[143:144], v[50:51], s[38:39]
	v_mul_f64 v[147:148], v[60:61], s[26:27]
	v_add_f64 v[110:111], v[133:134], v[129:130]
	v_fma_f64 v[129:130], v[66:67], s[18:19], -v[135:136]
	v_mul_f64 v[133:134], v[106:107], s[12:13]
	v_fma_f64 v[139:140], v[44:45], s[20:21], v[127:128]
	v_fma_f64 v[127:128], v[44:45], s[20:21], -v[127:128]
	v_fma_f64 v[149:150], v[44:45], s[10:11], -v[46:47]
	v_fma_f64 v[44:45], v[44:45], s[10:11], v[46:47]
	v_fma_f64 v[145:146], v[48:49], s[34:35], v[143:144]
	v_mul_f64 v[153:154], v[96:97], s[44:45]
	v_add_f64 v[46:47], v[129:130], v[110:111]
	v_fma_f64 v[110:111], v[92:93], s[6:7], -v[133:134]
	v_mul_f64 v[129:130], v[102:103], s[50:51]
	v_add_f64 v[139:140], v[0:1], v[139:140]
	v_add_f64 v[131:132], v[2:3], v[131:132]
	v_mul_f64 v[151:152], v[104:105], s[12:13]
	v_add_f64 v[137:138], v[2:3], v[137:138]
	v_add_f64 v[2:3], v[2:3], v[52:53]
	v_mul_f64 v[52:53], v[62:63], s[46:47]
	v_add_f64 v[46:47], v[110:111], v[46:47]
	v_fma_f64 v[110:111], v[90:91], s[14:15], -v[129:130]
	v_add_f64 v[139:140], v[145:146], v[139:140]
	v_fma_f64 v[145:146], v[56:57], s[18:19], v[147:148]
	v_fma_f64 v[62:63], v[86:87], s[28:29], -v[153:154]
	v_mul_f64 v[50:51], v[50:51], s[46:47]
	v_add_f64 v[127:128], v[0:1], v[127:128]
	v_add_f64 v[149:150], v[0:1], v[149:150]
	v_mul_f64 v[155:156], v[100:101], s[50:51]
	v_add_f64 v[46:47], v[110:111], v[46:47]
	v_add_f64 v[0:1], v[0:1], v[44:45]
	;; [unrolled: 1-line block ×3, first 2 shown]
	v_fma_f64 v[145:146], v[64:65], s[6:7], v[151:152]
	v_mul_f64 v[60:61], v[60:61], s[52:53]
	v_mul_f64 v[108:109], v[108:109], s[52:53]
	;; [unrolled: 1-line block ×3, first 2 shown]
	v_fma_f64 v[110:111], v[88:89], s[14:15], v[155:156]
	v_add_f64 v[46:47], v[62:63], v[46:47]
	v_fma_f64 v[62:63], v[48:49], s[20:21], v[50:51]
	v_mul_f64 v[106:107], v[106:107], s[38:39]
	v_add_f64 v[44:45], v[145:146], v[139:140]
	v_mul_f64 v[139:140], v[98:99], s[44:45]
	v_fma_f64 v[145:146], v[58:59], s[20:21], -v[52:53]
	v_mul_f64 v[100:101], v[100:101], s[36:37]
	v_mul_f64 v[102:103], v[102:103], s[36:37]
	v_fma_f64 v[141:142], v[58:59], s[34:35], v[141:142]
	v_add_f64 v[0:1], v[62:63], v[0:1]
	v_fma_f64 v[62:63], v[56:57], s[24:25], v[60:61]
	v_add_f64 v[44:45], v[110:111], v[44:45]
	v_fma_f64 v[110:111], v[84:85], s[28:29], v[139:140]
	v_add_f64 v[2:3], v[145:146], v[2:3]
	v_fma_f64 v[145:146], v[66:67], s[24:25], -v[108:109]
	v_mul_f64 v[96:97], v[96:97], s[26:27]
	v_mul_f64 v[157:158], v[94:95], s[30:31]
	;; [unrolled: 1-line block ×3, first 2 shown]
	v_add_f64 v[0:1], v[62:63], v[0:1]
	v_fma_f64 v[62:63], v[64:65], s[34:35], v[104:105]
	v_add_f64 v[44:45], v[110:111], v[44:45]
	v_fma_f64 v[110:111], v[92:93], s[34:35], -v[106:107]
	v_add_f64 v[2:3], v[145:146], v[2:3]
	v_add_f64 v[131:132], v[141:142], v[131:132]
	v_fma_f64 v[135:136], v[66:67], s[18:19], v[135:136]
	v_mul_f64 v[94:95], v[94:95], s[22:23]
	v_fma_f64 v[52:53], v[58:59], s[20:21], v[52:53]
	v_add_f64 v[0:1], v[62:63], v[0:1]
	v_fma_f64 v[62:63], v[88:89], s[28:29], v[100:101]
	v_mul_f64 v[161:162], v[54:55], s[30:31]
	v_add_f64 v[2:3], v[110:111], v[2:3]
	v_fma_f64 v[110:111], v[90:91], s[28:29], -v[102:103]
	v_fma_f64 v[141:142], v[84:85], s[18:19], v[98:99]
	v_mul_f64 v[54:55], v[54:55], s[22:23]
	v_add_f64 v[131:132], v[135:136], v[131:132]
	v_fma_f64 v[133:134], v[92:93], s[6:7], v[133:134]
	v_add_f64 v[0:1], v[62:63], v[0:1]
	v_fma_f64 v[62:63], v[48:49], s[34:35], -v[143:144]
	v_fma_f64 v[48:49], v[48:49], s[20:21], -v[50:51]
	v_add_f64 v[2:3], v[110:111], v[2:3]
	v_fma_f64 v[110:111], v[86:87], s[18:19], -v[96:97]
	v_fma_f64 v[66:67], v[66:67], s[24:25], v[108:109]
	v_add_f64 v[52:53], v[52:53], v[137:138]
	v_add_f64 v[131:132], v[133:134], v[131:132]
	;; [unrolled: 1-line block ×4, first 2 shown]
	v_fma_f64 v[62:63], v[56:57], s[18:19], -v[147:148]
	v_fma_f64 v[56:57], v[56:57], s[24:25], -v[60:61]
	v_add_f64 v[2:3], v[110:111], v[2:3]
	v_fma_f64 v[110:111], v[78:79], s[14:15], -v[94:95]
	v_add_f64 v[48:49], v[48:49], v[149:150]
	v_fma_f64 v[127:128], v[76:77], s[14:15], v[54:55]
	v_fma_f64 v[129:130], v[90:91], s[14:15], v[129:130]
	v_add_f64 v[52:53], v[66:67], v[52:53]
	v_add_f64 v[50:51], v[62:63], v[58:59]
	v_fma_f64 v[58:59], v[64:65], s[6:7], -v[151:152]
	v_fma_f64 v[64:65], v[64:65], s[34:35], -v[104:105]
	v_add_f64 v[62:63], v[110:111], v[2:3]
	v_fma_f64 v[2:3], v[92:93], s[34:35], v[106:107]
	v_add_f64 v[48:49], v[56:57], v[48:49]
	v_add_f64 v[108:109], v[127:128], v[0:1]
	;; [unrolled: 1-line block ×3, first 2 shown]
	v_fma_f64 v[66:67], v[90:91], s[28:29], v[102:103]
	v_add_f64 v[50:51], v[58:59], v[50:51]
	v_fma_f64 v[58:59], v[88:89], s[14:15], -v[155:156]
	v_fma_f64 v[159:160], v[78:79], s[24:25], -v[157:158]
	v_add_f64 v[2:3], v[2:3], v[52:53]
	v_fma_f64 v[52:53], v[86:87], s[28:29], v[153:154]
	v_add_f64 v[48:49], v[64:65], v[48:49]
	v_fma_f64 v[145:146], v[76:77], s[24:25], v[161:162]
	v_mul_f64 v[60:61], v[80:81], s[16:17]
	v_mul_f64 v[90:91], v[82:83], s[16:17]
	v_add_f64 v[50:51], v[58:59], v[50:51]
	v_fma_f64 v[58:59], v[88:89], s[28:29], -v[100:101]
	v_fma_f64 v[88:89], v[84:85], s[28:29], -v[139:140]
	v_add_f64 v[0:1], v[52:53], v[0:1]
	v_fma_f64 v[52:53], v[86:87], s[18:19], v[96:97]
	v_add_f64 v[2:3], v[66:67], v[2:3]
	v_fma_f64 v[66:67], v[84:85], s[18:19], -v[98:99]
	v_mul_f64 v[64:65], v[80:81], s[12:13]
	v_mul_f64 v[80:81], v[82:83], s[12:13]
	v_add_f64 v[48:49], v[58:59], v[48:49]
	v_add_f64 v[50:51], v[88:89], v[50:51]
	v_fma_f64 v[58:59], v[78:79], s[24:25], v[157:158]
	v_fma_f64 v[82:83], v[76:77], s[24:25], -v[161:162]
	v_fma_f64 v[78:79], v[78:79], s[14:15], v[94:95]
	v_add_f64 v[2:3], v[52:53], v[2:3]
	v_fma_f64 v[54:55], v[76:77], s[14:15], -v[54:55]
	v_add_f64 v[46:47], v[159:160], v[46:47]
	v_add_f64 v[48:49], v[66:67], v[48:49]
	;; [unrolled: 1-line block ×3, first 2 shown]
	v_fma_f64 v[56:57], v[74:75], s[10:11], -v[60:61]
	v_fma_f64 v[92:93], v[72:73], s[10:11], v[90:91]
	v_fma_f64 v[84:85], v[74:75], s[6:7], -v[64:65]
	v_fma_f64 v[52:53], v[72:73], s[6:7], v[80:81]
	v_add_f64 v[58:59], v[58:59], v[0:1]
	v_add_f64 v[66:67], v[82:83], v[50:51]
	v_fma_f64 v[50:51], v[74:75], s[10:11], v[60:61]
	v_fma_f64 v[60:61], v[74:75], s[6:7], v[64:65]
	v_add_f64 v[64:65], v[78:79], v[2:3]
	v_fma_f64 v[74:75], v[72:73], s[10:11], -v[90:91]
	v_fma_f64 v[72:73], v[72:73], s[6:7], -v[80:81]
	v_add_f64 v[76:77], v[54:55], v[48:49]
	v_add_f64 v[2:3], v[56:57], v[46:47]
	;; [unrolled: 1-line block ×5, first 2 shown]
	v_mul_u32_u24_e32 v56, 0x110, v68
	v_add3_u32 v56, 0, v56, v114
	v_add_f64 v[50:51], v[50:51], v[58:59]
	v_add_f64 v[48:49], v[74:75], v[66:67]
	;; [unrolled: 1-line block ×4, first 2 shown]
	ds_write_b128 v56, v[4:7]
	ds_write_b128 v56, v[44:47] offset:16
	ds_write_b128 v56, v[0:3] offset:32
	;; [unrolled: 1-line block ×16, first 2 shown]
.LBB0_18:
	s_or_b64 exec, exec, s[4:5]
	v_subrev_u32_e32 v0, 17, v68
	v_cmp_gt_u32_e32 vcc, 17, v68
	v_cndmask_b32_e32 v0, v0, v68, vcc
	v_mov_b32_e32 v1, 0
	v_lshlrev_b64 v[2:3], 4, v[0:1]
	v_mov_b32_e32 v4, s9
	v_add_co_u32_e32 v10, vcc, s8, v2
	v_add_u16_e32 v2, 34, v68
	s_movk_i32 s4, 0xf1
	v_addc_co_u32_e32 v11, vcc, v4, v3, vcc
	v_mul_lo_u16_sdwa v3, v2, s4 dst_sel:DWORD dst_unused:UNUSED_PAD src0_sel:BYTE_0 src1_sel:DWORD
	v_lshrrev_b16_e32 v110, 12, v3
	v_mul_lo_u16_e32 v3, 17, v110
	v_sub_u16_e32 v2, v2, v3
	v_mov_b32_e32 v27, 4
	s_waitcnt lgkmcnt(0)
	s_barrier
	v_lshlrev_b32_sdwa v111, v27, v2 dst_sel:DWORD dst_unused:UNUSED_PAD src0_sel:DWORD src1_sel:BYTE_0
	global_load_dwordx4 v[2:5], v[10:11], off
	global_load_dwordx4 v[6:9], v111, s[8:9]
	v_add_u16_e32 v10, 0x44, v68
	v_mul_lo_u16_sdwa v11, v10, s4 dst_sel:DWORD dst_unused:UNUSED_PAD src0_sel:BYTE_0 src1_sel:DWORD
	v_lshrrev_b16_e32 v115, 12, v11
	v_mul_lo_u16_e32 v11, 17, v115
	v_sub_u16_e32 v10, v10, v11
	v_lshlrev_b32_sdwa v116, v27, v10 dst_sel:DWORD dst_unused:UNUSED_PAD src0_sel:DWORD src1_sel:BYTE_0
	v_add_u16_e32 v10, 0x66, v68
	v_mul_lo_u16_sdwa v11, v10, s4 dst_sel:DWORD dst_unused:UNUSED_PAD src0_sel:BYTE_0 src1_sel:DWORD
	v_lshrrev_b16_e32 v117, 12, v11
	v_add_u16_e32 v18, 0x88, v68
	v_mul_lo_u16_e32 v11, 17, v117
	v_mul_lo_u16_sdwa v19, v18, s4 dst_sel:DWORD dst_unused:UNUSED_PAD src0_sel:BYTE_0 src1_sel:DWORD
	v_sub_u16_e32 v10, v10, v11
	v_lshrrev_b16_e32 v119, 12, v19
	v_lshlrev_b32_sdwa v118, v27, v10 dst_sel:DWORD dst_unused:UNUSED_PAD src0_sel:DWORD src1_sel:BYTE_0
	global_load_dwordx4 v[10:13], v116, s[8:9]
	global_load_dwordx4 v[14:17], v118, s[8:9]
	v_mul_lo_u16_e32 v19, 17, v119
	v_sub_u16_e32 v18, v18, v19
	v_lshlrev_b32_sdwa v120, v27, v18 dst_sel:DWORD dst_unused:UNUSED_PAD src0_sel:DWORD src1_sel:BYTE_0
	v_add_u16_e32 v18, 0xaa, v68
	v_add_u16_e32 v28, 0xcc, v68
	v_mul_lo_u16_sdwa v19, v18, s4 dst_sel:DWORD dst_unused:UNUSED_PAD src0_sel:BYTE_0 src1_sel:DWORD
	v_mul_lo_u16_sdwa v29, v28, s4 dst_sel:DWORD dst_unused:UNUSED_PAD src0_sel:BYTE_0 src1_sel:DWORD
	v_lshrrev_b16_e32 v121, 12, v19
	v_lshrrev_b16_e32 v123, 12, v29
	v_mul_lo_u16_e32 v19, 17, v121
	v_mul_lo_u16_e32 v29, 17, v123
	v_add_u32_e32 v26, 0xee, v68
	v_sub_u16_e32 v18, v18, v19
	v_sub_u16_e32 v28, v28, v29
	s_mov_b32 s4, 0xf0f1
	v_lshlrev_b32_sdwa v122, v27, v18 dst_sel:DWORD dst_unused:UNUSED_PAD src0_sel:DWORD src1_sel:BYTE_0
	global_load_dwordx4 v[18:21], v120, s[8:9]
	global_load_dwordx4 v[22:25], v122, s[8:9]
	v_lshlrev_b32_sdwa v124, v27, v28 dst_sel:DWORD dst_unused:UNUSED_PAD src0_sel:DWORD src1_sel:BYTE_0
	v_mul_u32_u24_sdwa v27, v26, s4 dst_sel:DWORD dst_unused:UNUSED_PAD src0_sel:WORD_0 src1_sel:DWORD
	v_lshrrev_b32_e32 v125, 20, v27
	v_mul_lo_u16_e32 v27, 17, v125
	v_sub_u16_e32 v30, v26, v27
	global_load_dwordx4 v[26:29], v124, s[8:9]
	v_lshlrev_b32_e32 v126, 4, v30
	global_load_dwordx4 v[30:33], v126, s[8:9]
	ds_read_b128 v[34:37], v113
	ds_read_b128 v[38:41], v69 offset:544
	ds_read_b128 v[42:45], v69 offset:4352
	;; [unrolled: 1-line block ×15, first 2 shown]
	v_cmp_lt_u32_e32 vcc, 16, v68
	v_lshlrev_b32_e32 v0, 4, v0
	s_movk_i32 s4, 0x220
	s_waitcnt vmcnt(0) lgkmcnt(0)
	s_barrier
	s_mov_b32 s7, 0x3fe6a09e
	s_mov_b32 s10, 0xa6aea964
	;; [unrolled: 1-line block ×6, first 2 shown]
	v_mul_f64 v[66:67], v[44:45], v[4:5]
	v_mul_f64 v[4:5], v[42:43], v[4:5]
	;; [unrolled: 1-line block ×4, first 2 shown]
	v_fma_f64 v[42:43], v[42:43], v[2:3], v[66:67]
	v_fma_f64 v[4:5], v[44:45], v[2:3], -v[4:5]
	v_fma_f64 v[44:45], v[46:47], v[6:7], v[104:105]
	v_fma_f64 v[8:9], v[48:49], v[6:7], -v[8:9]
	v_mul_f64 v[106:107], v[60:61], v[12:13]
	v_mul_f64 v[12:13], v[58:59], v[12:13]
	;; [unrolled: 1-line block ×4, first 2 shown]
	v_add_f64 v[4:5], v[36:37], -v[4:5]
	v_add_f64 v[8:9], v[40:41], -v[8:9]
	v_fma_f64 v[46:47], v[58:59], v[10:11], v[106:107]
	v_fma_f64 v[12:13], v[60:61], v[10:11], -v[12:13]
	v_fma_f64 v[48:49], v[62:63], v[14:15], v[108:109]
	v_fma_f64 v[16:17], v[64:65], v[14:15], -v[16:17]
	v_mul_f64 v[2:3], v[82:83], v[20:21]
	v_mul_f64 v[6:7], v[80:81], v[20:21]
	;; [unrolled: 1-line block ×4, first 2 shown]
	v_add_f64 v[12:13], v[52:53], -v[12:13]
	v_add_f64 v[16:17], v[56:57], -v[16:17]
	v_mul_f64 v[20:21], v[98:99], v[28:29]
	v_mul_f64 v[24:25], v[96:97], v[28:29]
	;; [unrolled: 1-line block ×4, first 2 shown]
	v_fma_f64 v[58:59], v[80:81], v[18:19], v[2:3]
	v_fma_f64 v[60:61], v[82:83], v[18:19], -v[6:7]
	v_add_f64 v[2:3], v[34:35], -v[42:43]
	v_fma_f64 v[62:63], v[84:85], v[22:23], v[10:11]
	v_fma_f64 v[64:65], v[86:87], v[22:23], -v[14:15]
	v_add_f64 v[6:7], v[38:39], -v[44:45]
	;; [unrolled: 3-line block ×4, first 2 shown]
	v_fma_f64 v[18:19], v[34:35], 2.0, -v[2:3]
	v_fma_f64 v[20:21], v[36:37], 2.0, -v[4:5]
	v_add_f64 v[34:35], v[72:73], -v[58:59]
	v_add_f64 v[36:37], v[74:75], -v[60:61]
	v_fma_f64 v[22:23], v[38:39], 2.0, -v[6:7]
	v_fma_f64 v[24:25], v[40:41], 2.0, -v[8:9]
	v_add_f64 v[38:39], v[76:77], -v[62:63]
	v_add_f64 v[40:41], v[78:79], -v[64:65]
	;; [unrolled: 4-line block ×3, first 2 shown]
	v_mov_b32_e32 v66, 0x220
	v_cndmask_b32_e32 v66, 0, v66, vcc
	v_fma_f64 v[30:31], v[54:55], 2.0, -v[14:15]
	v_fma_f64 v[32:33], v[56:57], 2.0, -v[16:17]
	v_add_f64 v[46:47], v[92:93], -v[82:83]
	v_add_f64 v[48:49], v[94:95], -v[84:85]
	v_add_u32_e32 v66, 0, v66
	v_add3_u32 v0, v66, v0, v114
	v_fma_f64 v[50:51], v[72:73], 2.0, -v[34:35]
	v_fma_f64 v[52:53], v[74:75], 2.0, -v[36:37]
	ds_write_b128 v0, v[18:21]
	ds_write_b128 v0, v[2:5] offset:272
	v_mad_u32_u24 v0, v110, s4, 0
	v_add3_u32 v0, v0, v111, v114
	v_fma_f64 v[54:55], v[76:77], 2.0, -v[38:39]
	v_fma_f64 v[56:57], v[78:79], 2.0, -v[40:41]
	ds_write_b128 v0, v[22:25]
	ds_write_b128 v0, v[6:9] offset:272
	v_mad_u32_u24 v0, v115, s4, 0
	;; [unrolled: 6-line block ×4, first 2 shown]
	v_add3_u32 v0, v0, v120, v114
	ds_write_b128 v0, v[50:53]
	ds_write_b128 v0, v[34:37] offset:272
	v_mad_u32_u24 v0, v121, s4, 0
	v_add3_u32 v0, v0, v122, v114
	ds_write_b128 v0, v[54:57]
	ds_write_b128 v0, v[38:41] offset:272
	v_mad_u32_u24 v0, v123, s4, 0
	;; [unrolled: 4-line block ×3, first 2 shown]
	v_add3_u32 v0, v0, v126, v114
	ds_write_b128 v0, v[62:65]
	ds_write_b128 v0, v[46:49] offset:272
	v_mul_u32_u24_e32 v0, 15, v68
	v_lshlrev_b32_e32 v0, 4, v0
	s_waitcnt lgkmcnt(0)
	s_barrier
	global_load_dwordx4 v[2:5], v0, s[8:9] offset:272
	global_load_dwordx4 v[6:9], v0, s[8:9] offset:288
	global_load_dwordx4 v[10:13], v0, s[8:9] offset:304
	global_load_dwordx4 v[14:17], v0, s[8:9] offset:320
	global_load_dwordx4 v[18:21], v0, s[8:9] offset:336
	global_load_dwordx4 v[22:25], v0, s[8:9] offset:352
	global_load_dwordx4 v[26:29], v0, s[8:9] offset:368
	global_load_dwordx4 v[30:33], v0, s[8:9] offset:384
	global_load_dwordx4 v[34:37], v0, s[8:9] offset:400
	global_load_dwordx4 v[38:41], v0, s[8:9] offset:416
	global_load_dwordx4 v[42:45], v0, s[8:9] offset:432
	global_load_dwordx4 v[46:49], v0, s[8:9] offset:448
	global_load_dwordx4 v[50:53], v0, s[8:9] offset:464
	global_load_dwordx4 v[54:57], v0, s[8:9] offset:480
	global_load_dwordx4 v[58:61], v0, s[8:9] offset:496
	ds_read_b128 v[62:65], v113
	ds_read_b128 v[72:75], v69 offset:544
	ds_read_b128 v[76:79], v69 offset:1088
	;; [unrolled: 1-line block ×15, first 2 shown]
	s_mov_b32 s4, 0x667f3bcd
	s_mov_b32 s5, 0xbfe6a09e
	;; [unrolled: 1-line block ×6, first 2 shown]
	s_waitcnt vmcnt(0) lgkmcnt(0)
	s_barrier
	v_mul_f64 v[66:67], v[74:75], v[4:5]
	v_mul_f64 v[4:5], v[72:73], v[4:5]
	;; [unrolled: 1-line block ×6, first 2 shown]
	v_fma_f64 v[66:67], v[72:73], v[2:3], v[66:67]
	v_fma_f64 v[2:3], v[74:75], v[2:3], -v[4:5]
	v_fma_f64 v[4:5], v[76:77], v[6:7], v[133:134]
	v_fma_f64 v[6:7], v[78:79], v[6:7], -v[8:9]
	v_fma_f64 v[8:9], v[80:81], v[10:11], v[135:136]
	v_fma_f64 v[10:11], v[82:83], v[10:11], -v[12:13]
	v_mul_f64 v[12:13], v[86:87], v[16:17]
	v_mul_f64 v[16:17], v[84:85], v[16:17]
	v_mul_f64 v[72:73], v[90:91], v[20:21]
	v_mul_f64 v[20:21], v[88:89], v[20:21]
	v_mul_f64 v[74:75], v[94:95], v[24:25]
	v_mul_f64 v[24:25], v[92:93], v[24:25]
	v_mul_f64 v[76:77], v[98:99], v[28:29]
	v_mul_f64 v[28:29], v[96:97], v[28:29]
	v_fma_f64 v[12:13], v[84:85], v[14:15], v[12:13]
	v_fma_f64 v[14:15], v[86:87], v[14:15], -v[16:17]
	v_fma_f64 v[16:17], v[88:89], v[18:19], v[72:73]
	v_fma_f64 v[18:19], v[90:91], v[18:19], -v[20:21]
	v_fma_f64 v[20:21], v[92:93], v[22:23], v[74:75]
	v_fma_f64 v[22:23], v[94:95], v[22:23], -v[24:25]
	v_fma_f64 v[24:25], v[96:97], v[26:27], v[76:77]
	v_fma_f64 v[26:27], v[98:99], v[26:27], -v[28:29]
	v_mul_f64 v[28:29], v[102:103], v[32:33]
	v_mul_f64 v[32:33], v[100:101], v[32:33]
	v_mul_f64 v[72:73], v[106:107], v[36:37]
	v_mul_f64 v[36:37], v[104:105], v[36:37]
	v_mul_f64 v[74:75], v[110:111], v[40:41]
	v_mul_f64 v[40:41], v[108:109], v[40:41]
	v_mul_f64 v[76:77], v[115:116], v[44:45]
	v_mul_f64 v[44:45], v[113:114], v[44:45]
	v_fma_f64 v[28:29], v[100:101], v[30:31], v[28:29]
	v_fma_f64 v[30:31], v[102:103], v[30:31], -v[32:33]
	;; [unrolled: 16-line block ×3, first 2 shown]
	v_fma_f64 v[48:49], v[121:122], v[50:51], v[72:73]
	v_fma_f64 v[50:51], v[123:124], v[50:51], -v[52:53]
	v_fma_f64 v[52:53], v[125:126], v[54:55], v[74:75]
	v_fma_f64 v[54:55], v[127:128], v[54:55], -v[56:57]
	v_add_f64 v[28:29], v[62:63], -v[28:29]
	v_add_f64 v[30:31], v[64:65], -v[30:31]
	v_add_f64 v[44:45], v[12:13], -v[44:45]
	v_add_f64 v[46:47], v[14:15], -v[46:47]
	v_add_f64 v[36:37], v[4:5], -v[36:37]
	v_add_f64 v[38:39], v[6:7], -v[38:39]
	v_add_f64 v[52:53], v[20:21], -v[52:53]
	v_add_f64 v[54:55], v[22:23], -v[54:55]
	v_fma_f64 v[56:57], v[129:130], v[58:59], v[76:77]
	v_fma_f64 v[58:59], v[131:132], v[58:59], -v[60:61]
	v_fma_f64 v[60:61], v[62:63], 2.0, -v[28:29]
	v_fma_f64 v[62:63], v[64:65], 2.0, -v[30:31]
	v_fma_f64 v[12:13], v[12:13], 2.0, -v[44:45]
	v_fma_f64 v[14:15], v[14:15], 2.0, -v[46:47]
	v_fma_f64 v[4:5], v[4:5], 2.0, -v[36:37]
	v_fma_f64 v[6:7], v[6:7], 2.0, -v[38:39]
	v_fma_f64 v[20:21], v[20:21], 2.0, -v[52:53]
	v_fma_f64 v[22:23], v[22:23], 2.0, -v[54:55]
	v_add_f64 v[32:33], v[66:67], -v[32:33]
	v_add_f64 v[34:35], v[2:3], -v[34:35]
	;; [unrolled: 1-line block ×10, first 2 shown]
	v_add_f64 v[46:47], v[28:29], v[46:47]
	v_add_f64 v[20:21], v[4:5], -v[20:21]
	v_add_f64 v[22:23], v[6:7], -v[22:23]
	v_add_f64 v[54:55], v[36:37], v[54:55]
	v_add_f64 v[44:45], v[30:31], -v[44:45]
	v_add_f64 v[52:53], v[38:39], -v[52:53]
	v_fma_f64 v[64:65], v[66:67], 2.0, -v[32:33]
	v_fma_f64 v[2:3], v[2:3], 2.0, -v[34:35]
	;; [unrolled: 1-line block ×14, first 2 shown]
	v_add_f64 v[50:51], v[32:33], v[50:51]
	v_add_f64 v[58:59], v[40:41], v[58:59]
	v_fma_f64 v[30:31], v[30:31], 2.0, -v[44:45]
	v_fma_f64 v[38:39], v[38:39], 2.0, -v[52:53]
	v_add_f64 v[48:49], v[34:35], -v[48:49]
	v_add_f64 v[56:57], v[42:43], -v[56:57]
	;; [unrolled: 1-line block ×6, first 2 shown]
	v_fma_f64 v[32:33], v[32:33], 2.0, -v[50:51]
	v_fma_f64 v[40:41], v[40:41], 2.0, -v[58:59]
	v_fma_f64 v[66:67], v[36:37], s[4:5], v[28:29]
	v_add_f64 v[74:75], v[60:61], -v[4:5]
	v_add_f64 v[76:77], v[62:63], -v[6:7]
	v_fma_f64 v[4:5], v[54:55], s[6:7], v[46:47]
	v_add_f64 v[80:81], v[14:15], -v[20:21]
	v_fma_f64 v[34:35], v[34:35], 2.0, -v[48:49]
	v_fma_f64 v[42:43], v[42:43], 2.0, -v[56:57]
	v_fma_f64 v[72:73], v[38:39], s[4:5], v[30:31]
	v_fma_f64 v[6:7], v[52:53], s[6:7], v[44:45]
	v_add_f64 v[78:79], v[12:13], v[22:23]
	v_fma_f64 v[64:65], v[64:65], 2.0, -v[16:17]
	v_fma_f64 v[2:3], v[2:3], 2.0, -v[18:19]
	;; [unrolled: 1-line block ×4, first 2 shown]
	v_fma_f64 v[66:67], v[38:39], s[6:7], v[66:67]
	v_fma_f64 v[22:23], v[62:63], 2.0, -v[76:77]
	v_fma_f64 v[62:63], v[52:53], s[6:7], v[4:5]
	v_fma_f64 v[38:39], v[14:15], 2.0, -v[80:81]
	v_fma_f64 v[4:5], v[40:41], s[4:5], v[32:33]
	v_fma_f64 v[14:15], v[56:57], s[6:7], v[48:49]
	;; [unrolled: 1-line block ×4, first 2 shown]
	v_fma_f64 v[36:37], v[12:13], 2.0, -v[78:79]
	v_fma_f64 v[6:7], v[42:43], s[4:5], v[34:35]
	v_fma_f64 v[12:13], v[58:59], s[6:7], v[50:51]
	v_add_f64 v[52:53], v[64:65], -v[8:9]
	v_add_f64 v[54:55], v[2:3], -v[10:11]
	v_fma_f64 v[42:43], v[42:43], s[6:7], v[4:5]
	v_add_f64 v[84:85], v[18:19], -v[24:25]
	v_fma_f64 v[58:59], v[58:59], s[4:5], v[14:15]
	v_fma_f64 v[20:21], v[60:61], 2.0, -v[74:75]
	v_fma_f64 v[40:41], v[40:41], s[4:5], v[6:7]
	v_add_f64 v[60:61], v[16:17], v[26:27]
	v_fma_f64 v[56:57], v[56:57], s[6:7], v[12:13]
	v_fma_f64 v[28:29], v[28:29], 2.0, -v[66:67]
	v_fma_f64 v[44:45], v[44:45], 2.0, -v[82:83]
	;; [unrolled: 1-line block ×12, first 2 shown]
	v_add_f64 v[2:3], v[20:21], -v[4:5]
	v_add_f64 v[4:5], v[22:23], -v[6:7]
	v_fma_f64 v[6:7], v[8:9], s[8:9], v[28:29]
	v_fma_f64 v[32:33], v[14:15], s[4:5], v[38:39]
	v_fma_f64 v[48:49], v[18:19], s[12:13], v[44:45]
	v_fma_f64 v[24:25], v[10:11], s[8:9], v[30:31]
	v_fma_f64 v[26:27], v[12:13], s[4:5], v[36:37]
	v_fma_f64 v[34:35], v[16:17], s[12:13], v[46:47]
	v_fma_f64 v[50:51], v[56:57], s[14:15], v[62:63]
	v_fma_f64 v[64:65], v[58:59], s[14:15], v[82:83]
	v_fma_f64 v[6:7], v[10:11], s[10:11], v[6:7]
	v_fma_f64 v[12:13], v[12:13], s[4:5], v[32:33]
	v_fma_f64 v[16:17], v[16:17], s[8:9], v[48:49]
	v_fma_f64 v[8:9], v[8:9], s[12:13], v[24:25]
	v_fma_f64 v[10:11], v[14:15], s[6:7], v[26:27]
	v_fma_f64 v[14:15], v[18:19], s[14:15], v[34:35]
	v_fma_f64 v[18:19], v[20:21], 2.0, -v[2:3]
	v_fma_f64 v[20:21], v[22:23], 2.0, -v[4:5]
	;; [unrolled: 1-line block ×5, first 2 shown]
	v_fma_f64 v[38:39], v[42:43], s[10:11], v[66:67]
	v_fma_f64 v[44:45], v[40:41], s[10:11], v[72:73]
	v_fma_f64 v[24:25], v[30:31], 2.0, -v[8:9]
	v_fma_f64 v[30:31], v[46:47], 2.0, -v[14:15]
	v_fma_f64 v[46:47], v[60:61], s[6:7], v[78:79]
	v_fma_f64 v[48:49], v[84:85], s[6:7], v[80:81]
	v_fma_f64 v[26:27], v[36:37], 2.0, -v[10:11]
	v_add_f64 v[34:35], v[74:75], v[54:55]
	v_add_f64 v[36:37], v[76:77], -v[52:53]
	v_fma_f64 v[38:39], v[40:41], s[14:15], v[38:39]
	v_fma_f64 v[40:41], v[42:43], s[8:9], v[44:45]
	;; [unrolled: 1-line block ×6, first 2 shown]
	v_fma_f64 v[50:51], v[74:75], 2.0, -v[34:35]
	v_fma_f64 v[52:53], v[76:77], 2.0, -v[36:37]
	;; [unrolled: 1-line block ×8, first 2 shown]
	ds_write_b128 v69, v[18:21]
	ds_write_b128 v69, v[22:25] offset:544
	ds_write_b128 v69, v[26:29] offset:1088
	;; [unrolled: 1-line block ×15, first 2 shown]
	s_waitcnt lgkmcnt(0)
	s_barrier
	s_and_saveexec_b64 s[4:5], s[0:1]
	s_cbranch_execz .LBB0_20
; %bb.19:
	v_lshl_add_u32 v12, v68, 4, v112
	v_mov_b32_e32 v69, v1
	ds_read_b128 v[2:5], v12
	v_mov_b32_e32 v0, s3
	v_add_co_u32_e32 v13, vcc, s2, v70
	v_lshlrev_b64 v[6:7], 4, v[68:69]
	v_addc_co_u32_e32 v14, vcc, v0, v71, vcc
	v_add_co_u32_e32 v10, vcc, v13, v6
	v_addc_co_u32_e32 v11, vcc, v14, v7, vcc
	ds_read_b128 v[6:9], v12 offset:544
	v_add_u32_e32 v0, 34, v68
	s_waitcnt lgkmcnt(1)
	global_store_dwordx4 v[10:11], v[2:5], off
	s_nop 0
	v_lshlrev_b64 v[2:3], 4, v[0:1]
	v_add_u32_e32 v0, 0x44, v68
	v_add_co_u32_e32 v2, vcc, v13, v2
	v_addc_co_u32_e32 v3, vcc, v14, v3, vcc
	s_waitcnt lgkmcnt(0)
	global_store_dwordx4 v[2:3], v[6:9], off
	ds_read_b128 v[2:5], v12 offset:1088
	v_lshlrev_b64 v[6:7], 4, v[0:1]
	v_add_u32_e32 v0, 0x66, v68
	v_add_co_u32_e32 v10, vcc, v13, v6
	v_addc_co_u32_e32 v11, vcc, v14, v7, vcc
	ds_read_b128 v[6:9], v12 offset:1632
	s_waitcnt lgkmcnt(1)
	global_store_dwordx4 v[10:11], v[2:5], off
	s_nop 0
	v_lshlrev_b64 v[2:3], 4, v[0:1]
	v_add_u32_e32 v0, 0x88, v68
	v_add_co_u32_e32 v2, vcc, v13, v2
	v_addc_co_u32_e32 v3, vcc, v14, v3, vcc
	s_waitcnt lgkmcnt(0)
	global_store_dwordx4 v[2:3], v[6:9], off
	ds_read_b128 v[2:5], v12 offset:2176
	v_lshlrev_b64 v[6:7], 4, v[0:1]
	v_add_u32_e32 v0, 0xaa, v68
	v_add_co_u32_e32 v10, vcc, v13, v6
	v_addc_co_u32_e32 v11, vcc, v14, v7, vcc
	ds_read_b128 v[6:9], v12 offset:2720
	;; [unrolled: 15-line block ×7, first 2 shown]
	v_lshlrev_b64 v[0:1], 4, v[0:1]
	s_waitcnt lgkmcnt(1)
	global_store_dwordx4 v[10:11], v[2:5], off
	v_add_co_u32_e32 v0, vcc, v13, v0
	v_addc_co_u32_e32 v1, vcc, v14, v1, vcc
	s_waitcnt lgkmcnt(0)
	global_store_dwordx4 v[0:1], v[6:9], off
.LBB0_20:
	s_endpgm
	.section	.rodata,"a",@progbits
	.p2align	6, 0x0
	.amdhsa_kernel fft_rtc_back_len544_factors_17_2_16_wgs_102_tpt_34_halfLds_dp_ip_CI_unitstride_sbrr_C2R_dirReg
		.amdhsa_group_segment_fixed_size 0
		.amdhsa_private_segment_fixed_size 0
		.amdhsa_kernarg_size 88
		.amdhsa_user_sgpr_count 6
		.amdhsa_user_sgpr_private_segment_buffer 1
		.amdhsa_user_sgpr_dispatch_ptr 0
		.amdhsa_user_sgpr_queue_ptr 0
		.amdhsa_user_sgpr_kernarg_segment_ptr 1
		.amdhsa_user_sgpr_dispatch_id 0
		.amdhsa_user_sgpr_flat_scratch_init 0
		.amdhsa_user_sgpr_private_segment_size 0
		.amdhsa_uses_dynamic_stack 0
		.amdhsa_system_sgpr_private_segment_wavefront_offset 0
		.amdhsa_system_sgpr_workgroup_id_x 1
		.amdhsa_system_sgpr_workgroup_id_y 0
		.amdhsa_system_sgpr_workgroup_id_z 0
		.amdhsa_system_sgpr_workgroup_info 0
		.amdhsa_system_vgpr_workitem_id 0
		.amdhsa_next_free_vgpr 163
		.amdhsa_next_free_sgpr 56
		.amdhsa_reserve_vcc 1
		.amdhsa_reserve_flat_scratch 0
		.amdhsa_float_round_mode_32 0
		.amdhsa_float_round_mode_16_64 0
		.amdhsa_float_denorm_mode_32 3
		.amdhsa_float_denorm_mode_16_64 3
		.amdhsa_dx10_clamp 1
		.amdhsa_ieee_mode 1
		.amdhsa_fp16_overflow 0
		.amdhsa_exception_fp_ieee_invalid_op 0
		.amdhsa_exception_fp_denorm_src 0
		.amdhsa_exception_fp_ieee_div_zero 0
		.amdhsa_exception_fp_ieee_overflow 0
		.amdhsa_exception_fp_ieee_underflow 0
		.amdhsa_exception_fp_ieee_inexact 0
		.amdhsa_exception_int_div_zero 0
	.end_amdhsa_kernel
	.text
.Lfunc_end0:
	.size	fft_rtc_back_len544_factors_17_2_16_wgs_102_tpt_34_halfLds_dp_ip_CI_unitstride_sbrr_C2R_dirReg, .Lfunc_end0-fft_rtc_back_len544_factors_17_2_16_wgs_102_tpt_34_halfLds_dp_ip_CI_unitstride_sbrr_C2R_dirReg
                                        ; -- End function
	.section	.AMDGPU.csdata,"",@progbits
; Kernel info:
; codeLenInByte = 13484
; NumSgprs: 60
; NumVgprs: 163
; ScratchSize: 0
; MemoryBound: 0
; FloatMode: 240
; IeeeMode: 1
; LDSByteSize: 0 bytes/workgroup (compile time only)
; SGPRBlocks: 7
; VGPRBlocks: 40
; NumSGPRsForWavesPerEU: 60
; NumVGPRsForWavesPerEU: 163
; Occupancy: 1
; WaveLimiterHint : 1
; COMPUTE_PGM_RSRC2:SCRATCH_EN: 0
; COMPUTE_PGM_RSRC2:USER_SGPR: 6
; COMPUTE_PGM_RSRC2:TRAP_HANDLER: 0
; COMPUTE_PGM_RSRC2:TGID_X_EN: 1
; COMPUTE_PGM_RSRC2:TGID_Y_EN: 0
; COMPUTE_PGM_RSRC2:TGID_Z_EN: 0
; COMPUTE_PGM_RSRC2:TIDIG_COMP_CNT: 0
	.type	__hip_cuid_98ba87bdf6d2d513,@object ; @__hip_cuid_98ba87bdf6d2d513
	.section	.bss,"aw",@nobits
	.globl	__hip_cuid_98ba87bdf6d2d513
__hip_cuid_98ba87bdf6d2d513:
	.byte	0                               ; 0x0
	.size	__hip_cuid_98ba87bdf6d2d513, 1

	.ident	"AMD clang version 19.0.0git (https://github.com/RadeonOpenCompute/llvm-project roc-6.4.0 25133 c7fe45cf4b819c5991fe208aaa96edf142730f1d)"
	.section	".note.GNU-stack","",@progbits
	.addrsig
	.addrsig_sym __hip_cuid_98ba87bdf6d2d513
	.amdgpu_metadata
---
amdhsa.kernels:
  - .args:
      - .actual_access:  read_only
        .address_space:  global
        .offset:         0
        .size:           8
        .value_kind:     global_buffer
      - .offset:         8
        .size:           8
        .value_kind:     by_value
      - .actual_access:  read_only
        .address_space:  global
        .offset:         16
        .size:           8
        .value_kind:     global_buffer
      - .actual_access:  read_only
        .address_space:  global
        .offset:         24
        .size:           8
        .value_kind:     global_buffer
      - .offset:         32
        .size:           8
        .value_kind:     by_value
      - .actual_access:  read_only
        .address_space:  global
        .offset:         40
        .size:           8
        .value_kind:     global_buffer
      - .actual_access:  read_only
        .address_space:  global
        .offset:         48
        .size:           8
        .value_kind:     global_buffer
      - .offset:         56
        .size:           4
        .value_kind:     by_value
      - .actual_access:  read_only
        .address_space:  global
        .offset:         64
        .size:           8
        .value_kind:     global_buffer
      - .actual_access:  read_only
        .address_space:  global
        .offset:         72
        .size:           8
        .value_kind:     global_buffer
      - .address_space:  global
        .offset:         80
        .size:           8
        .value_kind:     global_buffer
    .group_segment_fixed_size: 0
    .kernarg_segment_align: 8
    .kernarg_segment_size: 88
    .language:       OpenCL C
    .language_version:
      - 2
      - 0
    .max_flat_workgroup_size: 102
    .name:           fft_rtc_back_len544_factors_17_2_16_wgs_102_tpt_34_halfLds_dp_ip_CI_unitstride_sbrr_C2R_dirReg
    .private_segment_fixed_size: 0
    .sgpr_count:     60
    .sgpr_spill_count: 0
    .symbol:         fft_rtc_back_len544_factors_17_2_16_wgs_102_tpt_34_halfLds_dp_ip_CI_unitstride_sbrr_C2R_dirReg.kd
    .uniform_work_group_size: 1
    .uses_dynamic_stack: false
    .vgpr_count:     163
    .vgpr_spill_count: 0
    .wavefront_size: 64
amdhsa.target:   amdgcn-amd-amdhsa--gfx906
amdhsa.version:
  - 1
  - 2
...

	.end_amdgpu_metadata
